;; amdgpu-corpus repo=ROCm/Tensile kind=harvested arch=n/a opt=n/a

/******************************************/
/* Function Prefix                        */
/******************************************/



/******************************************/
/* Begin Kernel                           */
/******************************************/

// Component.Signature.SignatureDefault
.amdgcn_target "amdgcn-amd-amdhsa--gfx942"
.text
.protected Cijk_Ailk_Bljk_DB_MT128x64x16_MI16x16x4x1_SN_1LDSB1_APM1_AF0EM1_AF1EM1_AMAS3_ASE_ASGT_ASLT1257_ASM_ASAE01_ASCE01_ASEM1_BL1_BS1_CLR0_DTVA1_DTVB0_ETB_EPS1_ELFLR0_EMLL0_FSSC10_FL0_GLVWA2_GLVWB2_GRCGA1_GRPM1_GRVWn1_GSU1_GSUASB_GLS0_IU1_K1_LBSPPA0_LBSPPB128_LPA0_LPB4_LRVW2_LWPMn1_MIAV1_MKFGSU256_NTA0_NTB0_NTC3_NTD3_NEPBS4_NLCA1_NLCB1_ONLL1_PGR2_PLR5_PKA0_SIA3_SLW1_SS1_SU0_SUM0_SUS0_SPO0_SRVW0_SSO0_SVW2_TSGRA0_TSGRB0_TT2_64_TLDS1_UMLDSA0_UMLDSB1_USFGROn1_VAW1_VSn1_VW2_VWB1_VFLRP0_WSGRA0_WSGRB0_WG64_4_1_WGM1
.globl Cijk_Ailk_Bljk_DB_MT128x64x16_MI16x16x4x1_SN_1LDSB1_APM1_AF0EM1_AF1EM1_AMAS3_ASE_ASGT_ASLT1257_ASM_ASAE01_ASCE01_ASEM1_BL1_BS1_CLR0_DTVA1_DTVB0_ETB_EPS1_ELFLR0_EMLL0_FSSC10_FL0_GLVWA2_GLVWB2_GRCGA1_GRPM1_GRVWn1_GSU1_GSUASB_GLS0_IU1_K1_LBSPPA0_LBSPPB128_LPA0_LPB4_LRVW2_LWPMn1_MIAV1_MKFGSU256_NTA0_NTB0_NTC3_NTD3_NEPBS4_NLCA1_NLCB1_ONLL1_PGR2_PLR5_PKA0_SIA3_SLW1_SS1_SU0_SUM0_SUS0_SPO0_SRVW0_SSO0_SVW2_TSGRA0_TSGRB0_TT2_64_TLDS1_UMLDSA0_UMLDSB1_USFGROn1_VAW1_VSn1_VW2_VWB1_VFLRP0_WSGRA0_WSGRB0_WG64_4_1_WGM1
.p2align 8
.type Cijk_Ailk_Bljk_DB_MT128x64x16_MI16x16x4x1_SN_1LDSB1_APM1_AF0EM1_AF1EM1_AMAS3_ASE_ASGT_ASLT1257_ASM_ASAE01_ASCE01_ASEM1_BL1_BS1_CLR0_DTVA1_DTVB0_ETB_EPS1_ELFLR0_EMLL0_FSSC10_FL0_GLVWA2_GLVWB2_GRCGA1_GRPM1_GRVWn1_GSU1_GSUASB_GLS0_IU1_K1_LBSPPA0_LBSPPB128_LPA0_LPB4_LRVW2_LWPMn1_MIAV1_MKFGSU256_NTA0_NTB0_NTC3_NTD3_NEPBS4_NLCA1_NLCB1_ONLL1_PGR2_PLR5_PKA0_SIA3_SLW1_SS1_SU0_SUM0_SUS0_SPO0_SRVW0_SSO0_SVW2_TSGRA0_TSGRB0_TT2_64_TLDS1_UMLDSA0_UMLDSB1_USFGROn1_VAW1_VSn1_VW2_VWB1_VFLRP0_WSGRA0_WSGRB0_WG64_4_1_WGM1,@function
.section .rodata,#alloc
.p2align 6
.amdhsa_kernel Cijk_Ailk_Bljk_DB_MT128x64x16_MI16x16x4x1_SN_1LDSB1_APM1_AF0EM1_AF1EM1_AMAS3_ASE_ASGT_ASLT1257_ASM_ASAE01_ASCE01_ASEM1_BL1_BS1_CLR0_DTVA1_DTVB0_ETB_EPS1_ELFLR0_EMLL0_FSSC10_FL0_GLVWA2_GLVWB2_GRCGA1_GRPM1_GRVWn1_GSU1_GSUASB_GLS0_IU1_K1_LBSPPA0_LBSPPB128_LPA0_LPB4_LRVW2_LWPMn1_MIAV1_MKFGSU256_NTA0_NTB0_NTC3_NTD3_NEPBS4_NLCA1_NLCB1_ONLL1_PGR2_PLR5_PKA0_SIA3_SLW1_SS1_SU0_SUM0_SUS0_SPO0_SRVW0_SSO0_SVW2_TSGRA0_TSGRB0_TT2_64_TLDS1_UMLDSA0_UMLDSB1_USFGROn1_VAW1_VSn1_VW2_VWB1_VFLRP0_WSGRA0_WSGRB0_WG64_4_1_WGM1
  .amdhsa_user_sgpr_kernarg_segment_ptr 1
  .amdhsa_user_sgpr_kernarg_preload_offset 0
  .amdhsa_user_sgpr_kernarg_preload_length 0
  .amdhsa_user_sgpr_count 2
  .amdhsa_accum_offset 168 // accvgpr offset
  .amdhsa_next_free_vgpr 168 // vgprs
  .amdhsa_next_free_sgpr 60 // sgprs
  .amdhsa_group_segment_fixed_size 10240 // lds bytes
  .amdhsa_private_segment_fixed_size 0
  .amdhsa_system_sgpr_workgroup_id_x 1
  .amdhsa_system_sgpr_workgroup_id_y 1
  .amdhsa_system_sgpr_workgroup_id_z 1
  .amdhsa_system_vgpr_workitem_id 0
  .amdhsa_float_denorm_mode_32 3
  .amdhsa_float_denorm_mode_16_64 3
.end_amdhsa_kernel
.text

/******************************************/
/* Optimizations and Config:              */
/******************************************/
/* ThreadTile= 8 x 4 */
/* SubGroup= 16 x 16 */
/* VectorWidthA=2 */
/* VectorWidthB=1 */
/* GlobalLoadVectorWidthA=2, GlobalLoadVectorWidthB=2 */
/* DirectToLdsA=False */
/* DirectToLdsB=False */
/* UseSgprForGRO=0 */
.amdgpu_metadata
---
amdhsa.version:
  - 1
  - 1
amdhsa.target: amdgcn-amd-amdhsa--gfx942
amdhsa.kernels:
  - .name: Cijk_Ailk_Bljk_DB_MT128x64x16_MI16x16x4x1_SN_1LDSB1_APM1_AF0EM1_AF1EM1_AMAS3_ASE_ASGT_ASLT1257_ASM_ASAE01_ASCE01_ASEM1_BL1_BS1_CLR0_DTVA1_DTVB0_ETB_EPS1_ELFLR0_EMLL0_FSSC10_FL0_GLVWA2_GLVWB2_GRCGA1_GRPM1_GRVWn1_GSU1_GSUASB_GLS0_IU1_K1_LBSPPA0_LBSPPB128_LPA0_LPB4_LRVW2_LWPMn1_MIAV1_MKFGSU256_NTA0_NTB0_NTC3_NTD3_NEPBS4_NLCA1_NLCB1_ONLL1_PGR2_PLR5_PKA0_SIA3_SLW1_SS1_SU0_SUM0_SUS0_SPO0_SRVW0_SSO0_SVW2_TSGRA0_TSGRB0_TT2_64_TLDS1_UMLDSA0_UMLDSB1_USFGROn1_VAW1_VSn1_VW2_VWB1_VFLRP0_WSGRA0_WSGRB0_WG64_4_1_WGM1
    .symbol: 'Cijk_Ailk_Bljk_DB_MT128x64x16_MI16x16x4x1_SN_1LDSB1_APM1_AF0EM1_AF1EM1_AMAS3_ASE_ASGT_ASLT1257_ASM_ASAE01_ASCE01_ASEM1_BL1_BS1_CLR0_DTVA1_DTVB0_ETB_EPS1_ELFLR0_EMLL0_FSSC10_FL0_GLVWA2_GLVWB2_GRCGA1_GRPM1_GRVWn1_GSU1_GSUASB_GLS0_IU1_K1_LBSPPA0_LBSPPB128_LPA0_LPB4_LRVW2_LWPMn1_MIAV1_MKFGSU256_NTA0_NTB0_NTC3_NTD3_NEPBS4_NLCA1_NLCB1_ONLL1_PGR2_PLR5_PKA0_SIA3_SLW1_SS1_SU0_SUM0_SUS0_SPO0_SRVW0_SSO0_SVW2_TSGRA0_TSGRB0_TT2_64_TLDS1_UMLDSA0_UMLDSB1_USFGROn1_VAW1_VSn1_VW2_VWB1_VFLRP0_WSGRA0_WSGRB0_WG64_4_1_WGM1.kd'
    .language:                   OpenCL C
    .language_version:
      - 2
      - 0
    .args:
      - .name:            Tensor2dSizeA
        .size:            8
        .offset:          0
        .value_kind:      by_value
        .value_type:      u64
      - .name:            Tensor2dSizeB
        .size:            8
        .offset:          8
        .value_kind:      by_value
        .value_type:      u64
      - .name:            AddressD
        .size:            8
        .offset:          16
        .value_kind:      by_value
        .value_type:      u64
      - .name:            AddressC
        .size:            8
        .offset:          24
        .value_kind:      by_value
        .value_type:      u64
      - .name:            AddressA
        .size:            8
        .offset:          32
        .value_kind:      by_value
        .value_type:      u64
      - .name:            AddressB
        .size:            8
        .offset:          40
        .value_kind:      by_value
        .value_type:      u64
      - .name:            Alpha
        .size:            8
        .offset:          48
        .value_kind:      by_value
        .value_type:      u64
      - .name:            Beta
        .size:            8
        .offset:          56
        .value_kind:      by_value
        .value_type:      u64
      - .name:            StridesD
        .size:            8
        .offset:          64
        .value_kind:      by_value
        .value_type:      u64
      - .name:            StridesC
        .size:            8
        .offset:          72
        .value_kind:      by_value
        .value_type:      u64
      - .name:            StridesA
        .size:            8
        .offset:          80
        .value_kind:      by_value
        .value_type:      u64
      - .name:            StridesB
        .size:            8
        .offset:          88
        .value_kind:      by_value
        .value_type:      u64
      - .name:            SizesFree
        .size:            12
        .offset:          96
        .value_kind:      by_value
        .value_type:      u96
      - .name:            SizesSum
        .size:            4
        .offset:          108
        .value_kind:      by_value
        .value_type:      u32
      - .name:            NumWorkGroups0
        .size:            4
        .offset:          112
        .value_kind:      by_value
        .value_type:      u32
      - .name:            NumWorkGroups1
        .size:            4
        .offset:          116
        .value_kind:      by_value
        .value_type:      u32
    .group_segment_fixed_size:   10240
    .kernarg_segment_align:      8
    .kernarg_segment_size:       120
    .max_flat_workgroup_size:    256
    .private_segment_fixed_size: 0
    .sgpr_count:                 60
    .sgpr_spill_count:           0
    .vgpr_count:                 168
    .vgpr_spill_count:           0
    .wavefront_size:             64
...
.end_amdgpu_metadata
Cijk_Ailk_Bljk_DB_MT128x64x16_MI16x16x4x1_SN_1LDSB1_APM1_AF0EM1_AF1EM1_AMAS3_ASE_ASGT_ASLT1257_ASM_ASAE01_ASCE01_ASEM1_BL1_BS1_CLR0_DTVA1_DTVB0_ETB_EPS1_ELFLR0_EMLL0_FSSC10_FL0_GLVWA2_GLVWB2_GRCGA1_GRPM1_GRVWn1_GSU1_GSUASB_GLS0_IU1_K1_LBSPPA0_LBSPPB128_LPA0_LPB4_LRVW2_LWPMn1_MIAV1_MKFGSU256_NTA0_NTB0_NTC3_NTD3_NEPBS4_NLCA1_NLCB1_ONLL1_PGR2_PLR5_PKA0_SIA3_SLW1_SS1_SU0_SUM0_SUS0_SPO0_SRVW0_SSO0_SVW2_TSGRA0_TSGRB0_TT2_64_TLDS1_UMLDSA0_UMLDSB1_USFGROn1_VAW1_VSn1_VW2_VWB1_VFLRP0_WSGRA0_WSGRB0_WG64_4_1_WGM1:

/******************************************/
/* Asm syntax workarounds                 */
/******************************************/
.macro _v_add_co_u32 dst:req, cc:req, src0:req, src1:req, dpp=
   v_add_co_u32 \dst, \cc, \src0, \src1 \dpp
.endm

.macro _v_add_u32 dst:req, src0:req, src1:req, dpp=
   v_add_u32 \dst, \src0, \src1 \dpp
.endm

.macro _v_add_i32 dst:req, src0:req, src1:req, dpp=
   v_add_i32 \dst, \src0, \src1 \dpp
.endm

.macro _v_addc_co_u32 dst:req, ccOut:req, src0:req, ccIn:req, src1:req, dpp=
   v_addc_co_u32 \dst, \ccOut, \src0, \ccIn, \src1 \dpp
.endm

.macro _v_sub_co_u32 dst:req, cc:req, src0:req, src1:req, dpp=
   v_sub_co_u32 \dst, \cc, \src0, \src1 \dpp
.endm

.macro _v_sub_u32 dst:req, src0:req, src1:req, dpp=
   v_sub_u32 \dst, \src0, \src1 \dpp
.endm

.macro _v_sub_i32 dst:req, src0:req, src1:req, dpp=
   v_sub_i32 \dst, \src0, \src1 \dpp
.endm

.macro _v_add_lshl_u32 dst:req, src0:req, src1:req, shiftCnt:req
    v_add_lshl_u32 \dst, \src0, \src1, \shiftCnt
.endm

.macro _v_lshl_add_u32 dst:req, src0:req, src1:req, shiftCnt:req
    v_lshl_add_u32 \dst, \src0, \src1, \shiftCnt
.endm

.macro _v_lshl_or_b32 dst:req, src0:req, shiftCnt:req, src1:req
    v_lshl_or_b32 \dst, \src0, \shiftCnt, \src1
.endm

.macro _v_dot2acc_f32_f16 dst, src0, src1
v_dot2c_f32_f16 \dst, \src0, \src1
.endm

.macro _v_cmpx_lt_i16 dst, src0, src1=
   v_cmpx_lt_i16 \dst, \src0, \src1 
.endm

.macro _v_cmpx_lt_i32 dst, src0, src1=
   v_cmpx_lt_i32 \dst, \src0, \src1 
.endm

.macro _v_cmpx_lt_i64 dst, src0, src1=
   v_cmpx_lt_i64 \dst, \src0, \src1 
.endm

.macro _v_cmpx_lt_u16 dst, src0, src1=
   v_cmpx_lt_u16 \dst, \src0, \src1 
.endm

.macro _v_cmpx_lt_u32 dst, src0, src1=
   v_cmpx_lt_u32 \dst, \src0, \src1 
.endm

.macro _v_cmpx_lt_u64 dst, src0, src1=
   v_cmpx_lt_u64 \dst, \src0, \src1 
.endm

.macro _v_cmpx_eq_i16 dst, src0, src1=
   v_cmpx_eq_i16 \dst, \src0, \src1 
.endm

.macro _v_cmpx_eq_i32 dst, src0, src1=
   v_cmpx_eq_i32 \dst, \src0, \src1 
.endm

.macro _v_cmpx_eq_i64 dst, src0, src1=
   v_cmpx_eq_i64 \dst, \src0, \src1 
.endm

.macro _v_cmpx_eq_u16 dst, src0, src1=
   v_cmpx_eq_u16 \dst, \src0, \src1 
.endm

.macro _v_cmpx_eq_u32 dst, src0, src1=
   v_cmpx_eq_u32 \dst, \src0, \src1 
.endm

.macro _v_cmpx_eq_u64 dst, src0, src1=
   v_cmpx_eq_u64 \dst, \src0, \src1 
.endm

.macro _v_cmpx_le_i16 dst, src0, src1=
   v_cmpx_le_i16 \dst, \src0, \src1 
.endm

.macro _v_cmpx_le_i32 dst, src0, src1=
   v_cmpx_le_i32 \dst, \src0, \src1 
.endm

.macro _v_cmpx_le_i64 dst, src0, src1=
   v_cmpx_le_i64 \dst, \src0, \src1 
.endm

.macro _v_cmpx_le_u16 dst, src0, src1=
   v_cmpx_le_u16 \dst, \src0, \src1 
.endm

.macro _v_cmpx_le_u32 dst, src0, src1=
   v_cmpx_le_u32 \dst, \src0, \src1 
.endm

.macro _v_cmpx_le_u64 dst, src0, src1=
   v_cmpx_le_u64 \dst, \src0, \src1 
.endm

.macro _v_cmpx_gt_i16 dst, src0, src1=
   v_cmpx_gt_i16 \dst, \src0, \src1 
.endm

.macro _v_cmpx_gt_i32 dst, src0, src1=
   v_cmpx_gt_i32 \dst, \src0, \src1 
.endm

.macro _v_cmpx_gt_i64 dst, src0, src1=
   v_cmpx_gt_i64 \dst, \src0, \src1 
.endm

.macro _v_cmpx_gt_u16 dst, src0, src1=
   v_cmpx_gt_u16 \dst, \src0, \src1 
.endm

.macro _v_cmpx_gt_u32 dst, src0, src1=
   v_cmpx_gt_u32 \dst, \src0, \src1 
.endm

.macro _v_cmpx_gt_u64 dst, src0, src1=
   v_cmpx_gt_u64 \dst, \src0, \src1 
.endm

.macro _v_cmpx_ne_i16 dst, src0, src1=
   v_cmpx_ne_i16 \dst, \src0, \src1 
.endm

.macro _v_cmpx_ne_i32 dst, src0, src1=
   v_cmpx_ne_i32 \dst, \src0, \src1 
.endm

.macro _v_cmpx_ne_i64 dst, src0, src1=
   v_cmpx_ne_i64 \dst, \src0, \src1 
.endm

.macro _v_cmpx_ne_u16 dst, src0, src1=
   v_cmpx_ne_u16 \dst, \src0, \src1 
.endm

.macro _v_cmpx_ne_u32 dst, src0, src1=
   v_cmpx_ne_u32 \dst, \src0, \src1 
.endm

.macro _v_cmpx_ne_u64 dst, src0, src1=
   v_cmpx_ne_u64 \dst, \src0, \src1 
.endm

.macro _v_cmpx_lg_i16 dst, src0, src1=
   v_cmpx_lg_i16 \dst, \src0, \src1 
.endm

.macro _v_cmpx_lg_i32 dst, src0, src1=
   v_cmpx_lg_i32 \dst, \src0, \src1 
.endm

.macro _v_cmpx_lg_i64 dst, src0, src1=
   v_cmpx_lg_i64 \dst, \src0, \src1 
.endm

.macro _v_cmpx_lg_u16 dst, src0, src1=
   v_cmpx_lg_u16 \dst, \src0, \src1 
.endm

.macro _v_cmpx_lg_u32 dst, src0, src1=
   v_cmpx_lg_u32 \dst, \src0, \src1 
.endm

.macro _v_cmpx_lg_u64 dst, src0, src1=
   v_cmpx_lg_u64 \dst, \src0, \src1 
.endm

.macro _v_cmpx_ge_i16 dst, src0, src1=
   v_cmpx_ge_i16 \dst, \src0, \src1 
.endm

.macro _v_cmpx_ge_i32 dst, src0, src1=
   v_cmpx_ge_i32 \dst, \src0, \src1 
.endm

.macro _v_cmpx_ge_i64 dst, src0, src1=
   v_cmpx_ge_i64 \dst, \src0, \src1 
.endm

.macro _v_cmpx_ge_u16 dst, src0, src1=
   v_cmpx_ge_u16 \dst, \src0, \src1 
.endm

.macro _v_cmpx_ge_u32 dst, src0, src1=
   v_cmpx_ge_u32 \dst, \src0, \src1 
.endm

.macro _v_cmpx_ge_u64 dst, src0, src1=
   v_cmpx_ge_u64 \dst, \src0, \src1 
.endm

.macro _v_cmpx_o_i16 dst, src0, src1=
   v_cmpx_o_i16 \dst, \src0, \src1 
.endm

.macro _v_cmpx_o_i32 dst, src0, src1=
   v_cmpx_o_i32 \dst, \src0, \src1 
.endm

.macro _v_cmpx_o_i64 dst, src0, src1=
   v_cmpx_o_i64 \dst, \src0, \src1 
.endm

.macro _v_cmpx_o_u16 dst, src0, src1=
   v_cmpx_o_u16 \dst, \src0, \src1 
.endm

.macro _v_cmpx_o_u32 dst, src0, src1=
   v_cmpx_o_u32 \dst, \src0, \src1 
.endm

.macro _v_cmpx_o_u64 dst, src0, src1=
   v_cmpx_o_u64 \dst, \src0, \src1 
.endm

.macro _v_cmpx_u_i16 dst, src0, src1=
   v_cmpx_u_i16 \dst, \src0, \src1 
.endm

.macro _v_cmpx_u_i32 dst, src0, src1=
   v_cmpx_u_i32 \dst, \src0, \src1 
.endm

.macro _v_cmpx_u_i64 dst, src0, src1=
   v_cmpx_u_i64 \dst, \src0, \src1 
.endm

.macro _v_cmpx_u_u16 dst, src0, src1=
   v_cmpx_u_u16 \dst, \src0, \src1 
.endm

.macro _v_cmpx_u_u32 dst, src0, src1=
   v_cmpx_u_u32 \dst, \src0, \src1 
.endm

.macro _v_cmpx_u_u64 dst, src0, src1=
   v_cmpx_u_u64 \dst, \src0, \src1 
.endm
.macro _v_mac_f32 c:req, a:req, b:req
    v_fmac_f32 \c, \a, \b
.endmacro

/* scale global load macros */
.macro _s_load_b32 dst base offset
    s_load_dword \dst \base \offset
.endm

.macro _s_load_b64 dst base offset
    s_load_dwordx2 \dst \base \offset
.endm

.macro _s_load_b128 dst base offset
    s_load_dwordx4 \dst \base \offset
.endm

.macro _s_load_b256 dst base offset
    s_load_dwordx8 \dst \base \offset
.endm

.macro _s_load_b512 dst base offset
    s_load_dwordx16 \dst \base \offset
.endm


/* ds operation macros */
.macro _ds_load_u8 dst src offset
    ds_read_u8 \dst \src \offset
.endm

.macro _ds_load_u8_d16_hi dst src offset
    ds_read_u8_d16_hi \dst \src \offset
.endm

.macro _ds_load_u16 dst src offset
    ds_read_u16 \dst \src \offset
.endm

.macro _ds_load_u16_d16_hi dst src offset
    ds_read_u16_d16_hi \dst \src \offset
.endm

.macro _ds_load_b32 dst src offset
    ds_read_b32 \dst \src \offset
.endm

.macro _ds_load_b64 dst src offset
    ds_read_b64 \dst \src \offset
.endm

.macro _ds_load_b128 dst src offset
    ds_read_b128 \dst \src \offset
.endm

.macro _ds_store_b8 dst src offset
    ds_write_b8 \dst \src \offset
.endm

.macro _ds_store_b8_d16_hi dst src offset
    ds_write_b8_d16_hi \dst \src \offset
.endm

.macro _ds_store_b16 dst src offset
    ds_write_b16 \dst \src \offset
.endm

.macro _ds_store_b16_d16_hi dst src offset
    ds_write_b16_d16_hi \dst \src \offset
.endm

.macro _ds_store_b32 dst src offset
    ds_write_b32 \dst \src \offset
.endm

.macro _ds_store_b64 dst src offset
    ds_write_b64 \dst \src \offset
.endm

.macro _ds_store_b128 dst src offset
    ds_write_b128 \dst \src \offset
.endm

.macro _ds_load2_b32 dst src offset1 offset2
    ds_read2_b32 \dst \src \offset1 \offset2
.endm

.macro _ds_load2_b64 dst src offset1 offset2
    ds_read2_b64 \dst \src \offset1 \offset2
.endm

.macro _ds_store2_b32 dst src offset1 offset2
    ds_write2_b32 \dst \src \offset1 \offset2
.endm

.macro _ds_store2_b64 dst src offset1 offset2
    ds_write2_b64 \dst \src \offset1 \offset2
.endm


/* buffer memory operation macros */
.macro _buffer_load_b32 dst voffset base soffset offen ioffset md0 md1 md2
    buffer_load_dword \dst \voffset \base \soffset \offen \ioffset \md0 \md1 \md2
.endm

.macro _buffer_load_b64 dst voffset base soffset offen ioffset md0 md1 md2
    buffer_load_dwordx2 \dst \voffset \base \soffset \offen \ioffset \md0 \md1 \md2
.endm

.macro _buffer_load_b96 dst voffset base soffset offen ioffset md0 md1 md2
    buffer_load_dwordx3 \dst \voffset \base \soffset \offen \ioffset \md0 \md1 \md2
.endm

.macro _buffer_load_b128 dst voffset base soffset offen ioffset md0 md1 md2
    buffer_load_dwordx4 \dst \voffset \base \soffset \offen \ioffset \md0 \md1 \md2
.endm

.macro _buffer_load_d16_b16 dst voffset base soffset offen ioffset md0 md1 md2
    buffer_load_short_d16 \dst \voffset \base \soffset \offen \ioffset \md0 \md1 \md2
.endm

.macro _buffer_load_d16_hi_b16 dst voffset base soffset offen ioffset md0 md1 md2
    buffer_load_short_d16_hi \dst \voffset \base \soffset \offen \ioffset \md0 \md1 \md2
.endm

.macro _buffer_load_d16_u8 dst voffset base soffset offen ioffset md0 md1 md2
    buffer_load_ubyte_d16 \dst \voffset \base \soffset \offen \ioffset \md0 \md1 \md2
.endm

.macro _buffer_load_d16_hi_u8 dst voffset base soffset offen ioffset md0 md1 md2
    buffer_load_ubyte_d16_hi \dst \voffset \base \soffset \offen \ioffset \md0 \md1 \md2
.endm

.macro _buffer_load_u16 dst voffset base soffset offen ioffset md0 md1 md2
    buffer_load_ushort \dst \voffset \base \soffset \offen \ioffset \md0 \md1 \md2
.endm

.macro _buffer_load_b32_dtl voffset base soffset offen ioffset md0 md1 md2
    buffer_load_dword \voffset \base \soffset \offen \ioffset \md0 \md1 \md2
.endm

.macro _buffer_load_b64_dtl voffset base soffset offen ioffset md0 md1 md2
    buffer_load_dwordx2 \voffset \base \soffset \offen \ioffset \md0 \md1 \md2
.endm

.macro _buffer_load_b128_dtl voffset base soffset offen ioffset md0 md1 md2
    buffer_load_dwordx4 \voffset \base \soffset \offen \ioffset \md0 \md1 \md2
.endm

.macro _buffer_load_u16_dtl voffset base soffset offen ioffset md0 md1 md2
    buffer_load_ushort \voffset \base \soffset \offen \ioffset \md0 \md1 \md2
.endm

.macro _buffer_store_b32 src voffset base soffset offen ioffset md0 md1 md2
    buffer_store_dword \src \voffset \base \soffset \offen \ioffset \md0 \md1 \md2
.endm

.macro _buffer_store_b64 src voffset base soffset offen ioffset md0 md1 md2
    buffer_store_dwordx2 \src \voffset \base \soffset \offen \ioffset \md0 \md1 \md2
.endm

.macro _buffer_store_b96 src voffset base soffset offen ioffset md0 md1 md2
    buffer_store_dwordx3 \src \voffset \base \soffset \offen \ioffset \md0 \md1 \md2
.endm

.macro _buffer_store_b128 src voffset base soffset offen ioffset md0 md1 md2
    buffer_store_dwordx4 \src \voffset \base \soffset \offen \ioffset \md0 \md1 \md2
.endm

.macro _buffer_store_b16 src voffset base soffset offen ioffset md0 md1 md2
    buffer_store_short \src \voffset \base \soffset \offen \ioffset \md0 \md1 \md2
.endm

.macro _buffer_store_d16_hi_b16 src voffset base soffset offen ioffset md0 md1 md2
    buffer_store_short_d16_hi \src \voffset \base \soffset \offen \ioffset \md0 \md1 \md2
.endm

.macro _buffer_store_b8 src voffset base soffset offen ioffset md0 md1 md2
    buffer_store_byte \src \voffset \base \soffset \offen \ioffset \md0 \md1 \md2
.endm

.macro _buffer_store_d16_hi_b8 src voffset base soffset offen ioffset md0 md1 md2
    buffer_store_byte_d16_hi \src \voffset \base \soffset \offen \ioffset \md0 \md1 \md2
.endm

.macro _buffer_atomic_cmpswap_b32 dst voffset base soffset offen ioffset md0 md1 md2
    buffer_atomic_cmpswap \dst \voffset \base \soffset \offen \ioffset \md0 \md1 \md2
.endm

.macro _buffer_atomic_cmpswap_b64 dst voffset base soffset offen ioffset md0 md1 md2
    buffer_atomic_cmpswap_x2 \dst \voffset \base \soffset \offen \ioffset \md0 \md1 \md2
.endm


/* buffer memory operation macros */
.macro _global_load_b32 dst base src ioffset md0 md1 md2
    global_load_dword \dst \base \src \ioffset \md0 \md1 \md2
.endm

.macro _global_load_b64 dst base src ioffset md0 md1 md2
    global_load_dwordx2 \dst \base \src \ioffset \md0 \md1 \md2
.endm

.macro _global_load_b96 dst base src ioffset md0 md1 md2
    global_load_dwordx3 \dst \base \src \ioffset \md0 \md1 \md2
.endm

.macro _global_load_b128 dst base src ioffset md0 md1 md2
    global_load_dwordx4 \dst \base \src \ioffset \md0 \md1 \md2
.endm

.macro _global_load_d16_b16 dst base src ioffset md0 md1 md2
    global_load_short_d16 \dst \base \src \ioffset \md0 \md1 \md2
.endm

.macro _global_load_d16_hi_b16 dst base src ioffset md0 md1 md2
    global_load_short_d16_hi \dst \base \src \ioffset \md0 \md1 \md2
.endm

.macro _global_load_d16_u8 dst base src ioffset md0 md1 md2
    global_load_ubyte_d16 \dst \base \src \ioffset \md0 \md1 \md2
.endm

.macro _global_load_d16_hi_u8 dst base src ioffset md0 md1 md2
    global_load_ubyte_d16_hi \dst \base \src \ioffset \md0 \md1 \md2
.endm

.macro _global_load_u16 dst base src ioffset md0 md1 md2
    global_load_ushort \dst \base \src \ioffset \md0 \md1 \md2
.endm

.macro _global_store_b32 base src src2 md0 md1 md2
    global_store_dword \base \src \src2 \md0 \md1 \md2
.endm

.macro _global_store_b64 base src src2 md0 md1 md2
    global_store_dwordx2 \base \src \src2 \md0 \md1 \md2
.endm

.macro _global_store_b96 base src src2 md0 md1 md2
    global_store_dwordx3 \base \src \src2 \md0 \md1 \md2
.endm

.macro _global_store_b128 base src src2 md0 md1 md2
    global_store_dwordx4 \base \src \src2 \md0 \md1 \md2
.endm

.macro _global_store_d16_b16 base src src2 md0 md1 md2
    global_store_short \base \src \src2 \md0 \md1 \md2
.endm

.macro _global_store_d16_hi_b16 base src src2 md0 md1 md2
    global_store_short_d16_hi \base \src \src2 \md0 \md1 \md2
.endm

.macro _global_store_d16_u8 base src src2 md0 md1 md2
    global_store_ubyte_d16 \base \src \src2 \md0 \md1 \md2
.endm

.macro _global_store_d16_hi_u8 base src src2 md0 md1 md2
    global_store_ubyte_d16_hi \base \src \src2 \md0 \md1 \md2
.endm

.macro _global_store_u16 base src src2 md0 md1 md2
    global_store_ushort \base \src \src2 \md0 \md1 \md2
.endm

.macro _global_atomic_cmpswap_b32 tmp base data src ioffset md
    global_atomic_cmpswap \tmp \base \data \src \ioffset \md
.endm

.macro _global_atomic_cmpswap_b64 tmp base data src ioffset md
    global_atomic_cmpswap_x2 \tmp \base \data \src \ioffset \md
.endm


/******************************************/
/* Magic div and mod functions            */
/******************************************/
.macro V_MAGIC_DIV dstIdx:req, dividend:req, magicNumber:req, magicShift:req, magicA:req
    v_mul_hi_u32 v[\dstIdx+1], \dividend, \magicNumber
    v_mul_lo_u32 v[\dstIdx+0], \dividend, \magicA
    _v_add_u32 v[\dstIdx+0], v[\dstIdx+0], v[\dstIdx+1]
    v_lshrrev_b32 v[\dstIdx+0], \magicShift, v[\dstIdx+0]
.endm

/******************************************/
/* VGPR Assignments                       */
/******************************************/
/* ValuC range: [0-64), serializedStore enabled */
.set vgprValuC, 0
/* ValuA/B   Xn=PLR buffer idx,  In=InnerUnroll idx */
.set vgprG2LA, 104
.set vgprG2LA0, 104
.set vgprG2LA1, 120
.set vgprValuB_X0_I0, 64
.set vgprValuB_X1_I0, 72
.set vgprValuB_X2_I0, 80
.set vgprValuB_X3_I0, 88
.set vgprG2LB, 136
.set vgprLocalWriteAddrB, 96
.set vgprGlobalReadOffsetA, 97
.set vgprGlobalReadOffsetB, 101
.set vgprLocalReadAddrB, 144
.set vgprSerial, 145
/* Num VGPR=168 */
/* Num AccVGPR=0 */

/******************************************/
/* SGPR Assignments                       */
/******************************************/
.set sgprKernArgAddress, 0 // (2)
.set sgprWorkGroup0, 2 // (1)
.set sgprWorkGroup1, 3 // (1)
.set sgprWorkGroup2, 4 // (1)
.set sgprLoopCounterL, 5 // (1)
.set sgprOrigLoopCounter, 6 // (1)
.set sgprSrdA, 8 // (4)
.set sgprSrdB, 12 // (4)
.set sgprSrdD, 16 // (4)
.set sgprSrdC, 20 // (4)
.set sgprTensor2dSizeA, 24 // (2)
.set sgprTensor2dSizeB, 26 // (2)
.set sgprAddressD, 28 // (2)
.set sgprAddressC, 30 // (2)
.set sgprAddressA, 32 // (2)
.set sgprAddressB, 34 // (2)
.set sgprAlpha, 36 // (2)
.set sgprBeta, 38 // (2)
.set sgprStridesD, 40 // (2)
.set sgprStridesC, 42 // (2)
.set sgprStridesA, 44 // (2)
.set sgprStridesB, 46 // (2)
.set sgprSizesFree, 48 // (3)
.set sgprSizesSum, 51 // (1)
.set sgprNumWorkGroups0, 52 // (1)
.set sgprNumWorkGroups1, 53 // (1)
.set sgprShadowLimitA, 0 // (2)
.set sgprShadowLimitB, 28 // (2)
.set sgprGlobalReadIncsA, 7 // (1)
.set sgprGlobalReadIncsB, 30 // (1)
/* max SGPR=60 */

/* Size Assignments */
.set sgprSizeI, sgprSizesFree+0
.set sgprSizeJ, sgprSizesFree+1
.set sgprSizeK, sgprSizesFree+2
.set sgprSizeL, sgprSizesSum+0

/* Stride Assignments */
.set constStrideD0I, 1
.set sgprStrideD1J, sgprStridesD+0
.set sgprStrideDK, sgprStridesD+1
.set constStrideC0I, 1
.set sgprStrideC1J, sgprStridesC+0
.set sgprStrideCK, sgprStridesC+1
.set constStrideA0I, 1
.set sgprStrideAL, sgprStridesA+0
.set sgprStrideAK, sgprStridesA+1
.set constStrideBL, 1
.set sgprStrideB1J, sgprStridesB+0
.set sgprStrideBK, sgprStridesB+1

.set MT0, 128
.set MT1, 64
.set DepthU, 16
.set GSU, 1
.set BpeA, 8
.set BpeALog2, 3
.set BpeB, 8
.set BpeBLog2, 3
/* Number of elements to shift-left SRD */
.set SrdShiftLeftA, 2
.set SrdShiftLeftB, 2
/* 2GB limit - set offsets to -1 to exceed this and clamp */
.set BufferLimitA, 0xffffffff
.set BufferLimitB, 0xffffffff
.set BufferOOB, 0xfffff000

/******************************************/
/* Bits 127:96 of SRD.                    */
/* hex: 0x00020000                        */
/* dst_sel_x (3b): 0                      */
/* dst_sel_y (3b): 0                      */
/* dst_sel_z (3b): 0                      */
/* dst_sel_w (3b): 0                      */
/* num_format (3b): 0                     */
/* data_format (4b): 4                    */
/* user_vm_enable (1b): 0                 */
/* user_vm_mode (1b): 0                   */
/* index_stride (2b): 0                   */
/* add_tid_enable (1b): 0                 */
/* _unusedA (3b): 0                       */
/* nv (1b): 0                             */
/* _unusedB (2b): 0                       */
/* type (2b): 0                           */
/******************************************/
.set Srd127_96, 0x00020000

/* Global Offset A */
.macro GLOBAL_OFFSET_A vgprAddr:req vgprOffset0I:req vgprOffsetL:req vgprTmp:req
v_mul_lo_u32 v[\vgprTmp+0], s[sgprStrideAL], v[\vgprOffsetL] // mul d1 lower
_v_add_co_u32 v[\vgprAddr+0], vcc, v[\vgprOffset0I], v[\vgprTmp+0] // accumulate K lower
_v_add_u32 v[\vgprAddr+0], 0x2, v[\vgprAddr+0]     // add prepad for pointer shift
v_lshlrev_b32 v[\vgprAddr+0], 0x3, v[\vgprAddr+0]  // offset *= bytes/element
.endm

/* Global Offset B */
.macro GLOBAL_OFFSET_B vgprAddr:req vgprOffsetL:req vgprOffset1J:req vgprTmp:req
v_mul_lo_u32 v[\vgprTmp+0], s[sgprStrideB1J], v[\vgprOffset1J] // mul d1 lower
_v_add_co_u32 v[\vgprAddr+0], vcc, v[\vgprOffsetL], v[\vgprTmp+0] // accumulate K lower
_v_add_u32 v[\vgprAddr+0], 0x2, v[\vgprAddr+0]     // add prepad for pointer shift
v_lshlrev_b32 v[\vgprAddr+0], 0x3, v[\vgprAddr+0]  // offset *= bytes/element
.endm

/******************************************/
/* Dynamic Scalar Divide: vQuotient=vDividend/vDivisor; vRemainder=vDividend%vDivisor; */
/******************************************/
.macro DYNAMIC_VECTOR_DIVIDE vQuotient vRemainder vDividend vDivisor vTmp0 vTmp1 sTmp
v_cvt_f32_u32 v[\vQuotient], v[\vDivisor]          // 
v_rcp_f32 v[\vQuotient], v[\vQuotient]             // 
v_mul_f32 v[\vQuotient], 0x4f800000, v[\vQuotient] // 
v_cvt_u32_f32 v[\vQuotient], v[\vQuotient]         // 
v_mul_lo_u32 v[\vRemainder], v[\vDivisor], v[\vQuotient] // 
v_mul_hi_u32 v[\vTmp0], v[\vDivisor], v[\vQuotient] // 
_v_sub_co_u32 v[\vTmp1], vcc, 0x0, v[\vRemainder]  // 
v_cmp_ne_i32 s[\sTmp:\sTmp+1], 0x0, v[\vTmp0]      // 
v_cndmask_b32 v[\vRemainder], v[\vTmp1], v[\vRemainder], s[\sTmp:\sTmp+1] // 
v_mul_hi_u32 v[\vRemainder], v[\vRemainder], v[\vQuotient] // 
_v_sub_co_u32 v[\vTmp0], vcc, v[\vQuotient], v[\vRemainder] // 
_v_add_co_u32 v[\vQuotient], vcc, v[\vQuotient], v[\vRemainder] // 
v_cndmask_b32 v[\vQuotient], v[\vQuotient], v[\vTmp0], s[\sTmp:\sTmp+1] // 
v_mul_hi_u32 v[\vQuotient], v[\vQuotient], v[\vDividend] // 
v_mul_lo_u32 v[\vRemainder], v[\vQuotient], v[\vDivisor] // 
_v_sub_co_u32 v[\vTmp0], vcc, v[\vDividend], v[\vRemainder] // 
v_cmp_ge_u32 s[\sTmp:\sTmp+1], v[\vDividend], v[\vRemainder] // 
_v_add_co_u32 v[\vRemainder], vcc, 0x1, v[\vQuotient] // 
_v_add_co_u32 v[\vTmp1], vcc, -1, v[\vQuotient]    // 
v_cmp_le_u32 vcc, v[\vDivisor], v[\vTmp0]          // 
s_and_b64 vcc, s[\sTmp:\sTmp+1], vcc               // 
v_cndmask_b32 v[\vQuotient], v[\vQuotient], v[\vRemainder], vcc // 
v_cndmask_b32 v[\vQuotient], v[\vTmp1], v[\vQuotient], s[\sTmp:\sTmp+1] // 
v_cmp_ne_i32 vcc, 0x0, v[\vDivisor]                // 
v_cndmask_b32 v[\vQuotient], -1, v[\vQuotient], vcc // final result
v_mul_lo_u32 v[\vRemainder], v[\vQuotient], v[\vDivisor] // 
_v_sub_co_u32 v[\vRemainder], vcc, v[\vDividend], v[\vRemainder] // final result
.endm


	;; [unrolled: 1-line block ×3, first 2 shown]
/******************************************/
/* Allocate Resources                     */
/******************************************/

Cijk_Ailk_Bljk_DB_MT128x64x16_MI16x16x4x1_SN_1LDSB1_APM1_AF0EM1_AF1EM1_AMAS3_ASE_ASGT_ASLT1257_ASM_ASAE01_ASCE01_ASEM1_BL1_BS1_CLR0_DTVA1_DTVB0_ETB_EPS1_ELFLR0_EMLL0_FSSC10_FL0_GLVWA2_GLVWB2_GRCGA1_GRPM1_GRVWn1_GSU1_GSUASB_GLS0_IU1_K1_LBSPPA0_LBSPPB128_LPA0_LPB4_LRVW2_LWPMn1_MIAV1_MKFGSU256_NTA0_NTB0_NTC3_NTD3_NEPBS4_NLCA1_NLCB1_ONLL1_PGR2_PLR5_PKA0_SIA3_SLW1_SS1_SU0_SUM0_SUS0_SPO0_SRVW0_SSO0_SVW2_TSGRA0_TSGRB0_TT2_64_TLDS1_UMLDSA0_UMLDSB1_USFGROn1_VAW1_VSn1_VW2_VWB1_VFLRP0_WSGRA0_WSGRB0_WG64_4_1_WGM1_preloaded: // Kernel start when preloading

/* Load Kernel Args */
_s_load_b512 s[24:39], s[sgprKernArgAddress:sgprKernArgAddress+1], 0x0 // 
_s_load_b256 s[40:47], s[sgprKernArgAddress:sgprKernArgAddress+1], 0x40 // 
_s_load_b128 s[48:51], s[sgprKernArgAddress:sgprKernArgAddress+1], 0x60 // 
_s_load_b64 s[52:53], s[sgprKernArgAddress:sgprKernArgAddress+1], 0x70 // 
s_mov_b32 m0, 0x2800                               // LDS clamp at 10240 bytes
v_mov_b32 v[vgprSerial], v0                        // thread serial id

/******************************************/
/* Local Read Addresses                   */
/******************************************/


/* local read addresses: tile assignments a/b */

/*lr1J*/
v_and_b32 v1, 63, v[vgprSerial]                    // 0. thread id in wave: wtid = tid % wavelength(64)
v_and_b32 v0, 15, v1                               // 1. N offset: nIdx = wtid % MI_N(16)
v_lshlrev_b32 v0, 0x4, v0                          // 1. N offset: nOffset = nIdx * nStride(16)
                                                   // 2. block offset: bnIdx = bnIdx % num1DBlocks(1) is 0. do nothing
                                                   // 4. apply VectorWidth: bnOffset = bnOffset * vw(1) (multiplier is 1, do nothing)
v_lshrrev_b32 v1, 4, v1                            // 5. K offset: kIdx = wtid / (MIN(16) * MIBB(1))
v_lshlrev_b32 v1, 0x1, v1                          // 5. K offset: lrKOffset = kIdx * mStride(2)
_v_add_u32 v0, v1, v0                              // 6. offset in wave: lrOffset = bnOffset + lrKOffset


/* local read addresses: final offsets a */


	;; [unrolled: 1-line block ×3, first 2 shown]
/* local read addresses: final offsets b */

v_lshlrev_b32 v[vgprLocalReadAddrB], 0x3, v0       // Final Offset: offset = (lro1)*bpe
v_lshrrev_b32 v0, 7, v[vgprLocalReadAddrB]         // Final Offset: padding 4 per block 128
v_lshlrev_b32 v0, 0x5, v0                          // Final Offset: padding 4 per block 128
_v_add_u32 v[vgprLocalReadAddrB], v0, v[vgprLocalReadAddrB] // Final Offset: add padding 4 per block 128


/* local read addresses: declare addresses a */

/* N/A */


/* local read addresses: declare addresses b */


	;; [unrolled: 1-line block ×3, first 2 shown]
/* global read addresses: tile offset assignment a */

/* LVCA = 64 */
/* v0 = (local)groA-tile = serial%LVCA (note (wgA*MTA) will be added to SRD) */
/* v1 = groA-unroll = serial/LVCA */
v_and_b32 v1, 63, v[vgprSerial]                    // 0. thread id in wave: wtid = tid % wavelength(64)
v_and_b32 v0, 15, v1                               // 1. N offset: nIdx = wtid % MI_N(16)
                                                   // 1. N offset: nOffset = nIdx * nStride(1) (multiplier is 1, do nothing)
                                                   // 2. block offset: bnIdx = bnIdx % num1DBlocks(1) is 0. do nothing
                                                   // 4. apply VectorWidth: bnOffset = bnOffset * vw(1) (multiplier is 1, do nothing)
v_lshrrev_b32 v1, 4, v1                            // 5. K offset: kIdx = wtid / (MIN(16) * MIBB(1))
v_lshrrev_b32 v3, 6, v[vgprSerial]                 // v3 = v[vgprSerial] / 64
v_and_b32 v2, 3, v3                                // v2 = v3 % 4
v_lshlrev_b32 v2, 0x4, v2                          // v2 = v2 * 16
_v_add_u32 v0, v2, v0                              // 
v_lshlrev_b32 v1, 0x1, v1                          // v1 = v1 * 2
/* gro-tile *= glvw */
v_lshlrev_b32 v0, 0x1, v0                          // v0 = v0 * 2


/* global read addresses: tile offset assignment b */

/* LVCB = 8 */
/* v2 = (local)groB-tile = serial/LVCB (note (wgB*MTB) will be added to SRD) */
/* v3 = groB-unroll = serial%LVCB */
v_lshrrev_b32 v2, 3, v[vgprSerial]                 // v2 = v[vgprSerial] / 8
v_and_b32 v3, 7, v[vgprSerial]                     // v3 = v[vgprSerial] % 8
/* gro-unroll *= glvw */
v_lshlrev_b32 v3, 0x1, v3                          // v3 = v3 * 2


/******************************************/
/* Local Write Addresses                  */
/******************************************/

/* lwaTileAssignmentA = v0 */

/* lwaTileAssignmentB = v2 */

/* lwaUnrollAssignmentA = v1 */

/* lwaUnrollAssignmentB = v3 */


/* local write addresses: first offset a */


	;; [unrolled: 1-line block ×3, first 2 shown]
/* local write addresses: first offset b */

v_mul_u32_u24 v[vgprLocalWriteAddrB], 0x10, v2     // lwBL**(DepthU_Compute + PAD)
_v_add_lshl_u32 v[vgprLocalWriteAddrB], v3, v[vgprLocalWriteAddrB], 0x3 // lwFOB = (lwBB + lwBL*(DepthU+PAD))*bpe
v_lshrrev_b32 v4, 7, v[vgprLocalWriteAddrB]        // padding 4 per block 128
v_lshlrev_b32 v4, 0x5, v4                          // padding 4 per block 128
_v_add_u32 v[vgprLocalWriteAddrB], v4, v[vgprLocalWriteAddrB] // add padding 4 per block 128


	;; [unrolled: 1-line block ×7, first 2 shown]
s_waitcnt lgkmcnt(0)                               // wait for 120 bytes of kern args
s_mov_b64 s[sgprSrdC+0:sgprSrdC+0+1], s[sgprAddressC+0:sgprAddressC+0+1] // copy addressC
s_mov_b64 s[sgprSrdD+0:sgprSrdD+0+1], s[sgprAddressD+0:sgprAddressD+0+1] // copy addressD
s_sub_u32 s[sgprSrdA+0], s[sgprAddressA+0], 16     // pre-pad to make room for possible pointer shift
s_subb_u32 s[sgprSrdA+1], s[sgprAddressA+1], 0     // pre-pad to make room for possible pointer shift
s_sub_u32 s[sgprSrdB+0], s[sgprAddressB+0], 16     // pre-pad to make room for possible pointer shift
s_subb_u32 s[sgprSrdB+1], s[sgprAddressB+1], 0     // pre-pad to make room for possible pointer shift

.set AddressD, UNDEF
.set AddressC, UNDEF
.set AddressA, UNDEF
.set AddressB, UNDEF

/* Short circuit condition if Alpha == 0, then sumDims=0 */
v_cmp_eq_f64 vcc, s[sgprAlpha:sgprAlpha+1], 0.0    // Alpha == 0.0 ?
s_cbranch_vccz label_AlphaNonZero                  // branch if Alpha != 0
s_mov_b32 s[sgprSizesSum+0], 0x0                   // Set summation dim=0 if Alpha == 0
label_AlphaNonZero:


	;; [unrolled: 1-line block ×3, first 2 shown]
/******************************************/
/* Begin setupNewTile, isPap=False           */
/******************************************/


/* global read addresses: work-group */

/* graWorkGroup mapping */


/* global read addresses: unroll assignment a */

/* v1 */


/* global read addresses: unroll assignment b */

/* v3 */


/* global read addresses: other free assignments */

/* s[sgprWorkGroup2] */


/* global read addresses: tile offsets a */

v_mov_b32 v4, v0                                   // groA0I_0


/* global read addresses: tile offsets b */

v_mov_b32 v5, v2                                   // groB1J_0
_v_add_co_u32 v6, vcc, 32, v5                      // groB1J_1 += LSPB


/* global read addresses: unroll offsets a */

v_mov_b32 v7, v1                                   // groAL_0
_v_add_co_u32 v8, vcc, 1, v7                       // groAL_1 + LSPA
_v_add_co_u32 v9, vcc, 7, v8                       // groAL_2 + LSPA
_v_add_co_u32 v10, vcc, 1, v9                      // groAL_3 + LSPA


/* global read addresses: unroll offsets b */

v_mov_b32 v11, v3                                  // groBL_0


/* global read addresses: branch a */



/* global read addresses: branch b */


	;; [unrolled: 1-line block ×3, first 2 shown]
/* global read addresses: final offsets a */

GLOBAL_OFFSET_A vgprGlobalReadOffsetA+0,  4,  7, 12 // gROA_0_0_0_0
GLOBAL_OFFSET_A vgprGlobalReadOffsetA+1,  4,  8, 12 // gROA_0_0_1_0
GLOBAL_OFFSET_A vgprGlobalReadOffsetA+2,  4,  9, 12 // gROA_0_0_2_0
GLOBAL_OFFSET_A vgprGlobalReadOffsetA+3,  4, 10, 12 // gROA_0_0_3_0


/* global read addresses: final offsets b */

GLOBAL_OFFSET_B vgprGlobalReadOffsetB+0, 11,  5, 7 // gROB_0_0_0_0
GLOBAL_OFFSET_B vgprGlobalReadOffsetB+1, 11,  6, 7 // gROB_0_0_1_0


/* global read addresses: addresses a */

/* max read offset = size[n] * stride[n-1] */
s_mul_hi_u32 s35, s[sgprWorkGroup0], 128           // WorkGroup[01] * MT
s_mul_i32 s34, s[sgprWorkGroup0], 128              // WorkGroup[01] * MT
s_sub_u32 s[sgprShadowLimitA+0], s[sgprTensor2dSizeA], s34 // sub tileStart
s_subb_u32 s[sgprShadowLimitA+1], s[sgprTensor2dSizeA+1], s35 // sub tileStart
s_lshl_b64 s[sgprShadowLimitA:sgprShadowLimitA+1], s[sgprShadowLimitA:sgprShadowLimitA+1], 0x3 // Set limit to use bytes
s_add_u32 s[sgprShadowLimitA+0], s[sgprShadowLimitA+0], 16 // extend limit for pre-pad
s_addc_u32 s[sgprShadowLimitA+1], s[sgprShadowLimitA+1], 0 // extend limit for pre-pad
s_cmp_eq_u32 s[sgprShadowLimitA+1], 0              // are we within 2^32?
s_cselect_b32 s[sgprSrdA+2], s[sgprShadowLimitA+0], BufferLimitA // Move shadow to real if we are within 2^32
s_mul_hi_u32 s33, s[sgprStrideAK], s[sgprWorkGroup2] // Stride*WG
s_mul_i32 s32, s[sgprStrideAK], s[sgprWorkGroup2]  // Stride*WG
s_add_u32 s34, s34, s32                            // accum wg term to tilestart
s_addc_u32 s35, s35, s33                           // accum wg term to tilestart
s_lshl_b64 s[34:35], s[34:35], 0x3                 // tileStart *= BPE
s_add_u32 s[sgprSrdA+0], s[sgprSrdA+0], s34        // SRD base = Address+ tileStart0
s_addc_u32 s[sgprSrdA+1], s[sgprSrdA+1], s35       // SRD base = Address+ tileStart1
s_mov_b32 s[sgprSrdA+3], Srd127_96                 // Set bits 127_96 in SRD


/* global read addresses: addresses b */

/* max read offset = size[n] * stride[n-1] */
s_mul_hi_u32 s35, s[sgprWorkGroup1], 64            // WorkGroup[01] * MT
s_mul_i32 s34, s[sgprWorkGroup1], 64               // WorkGroup[01] * MT
s_mul_hi_u32 s35, s34, s[sgprStrideB1J]            // tlu=0, scaled tile-offset by stride
s_mul_i32 s34, s34, s[sgprStrideB1J]               // tlu=0, scaled tile-offset by stride
s_sub_u32 s[sgprShadowLimitB+0], s[sgprTensor2dSizeB], s34 // sub tileStart
s_subb_u32 s[sgprShadowLimitB+1], s[sgprTensor2dSizeB+1], s35 // sub tileStart
s_lshl_b64 s[sgprShadowLimitB:sgprShadowLimitB+1], s[sgprShadowLimitB:sgprShadowLimitB+1], 0x3 // Set limit to use bytes
s_add_u32 s[sgprShadowLimitB+0], s[sgprShadowLimitB+0], 16 // extend limit for pre-pad
s_addc_u32 s[sgprShadowLimitB+1], s[sgprShadowLimitB+1], 0 // extend limit for pre-pad
s_cmp_eq_u32 s[sgprShadowLimitB+1], 0              // are we within 2^32?
s_cselect_b32 s[sgprSrdB+2], s[sgprShadowLimitB+0], BufferLimitB // Move shadow to real if we are within 2^32
s_mul_hi_u32 s33, s[sgprStrideBK], s[sgprWorkGroup2] // Stride*WG
s_mul_i32 s32, s[sgprStrideBK], s[sgprWorkGroup2]  // Stride*WG
s_add_u32 s34, s34, s32                            // accum wg term to tilestart
s_addc_u32 s35, s35, s33                           // accum wg term to tilestart
s_lshl_b64 s[34:35], s[34:35], 0x3                 // tileStart *= BPE
s_add_u32 s[sgprSrdB+0], s[sgprSrdB+0], s34        // SRD base = Address+ tileStart0
s_addc_u32 s[sgprSrdB+1], s[sgprSrdB+1], s35       // SRD base = Address+ tileStart1
s_mov_b32 s[sgprSrdB+3], Srd127_96                 // Set bits 127_96 in SRD


/* global read addresses: increments a */

s_mul_i32 s[sgprGlobalReadIncsA+0], DepthU*BpeA, s[sgprStrideAL] // incrA unrollIdx)


/* global read addresses: increments b */

s_mov_b32 s[sgprGlobalReadIncsB+0], DepthU*BpeB    // incrB (unrollIdx)

/* declare loop num iterations */


s_lshr_b32 s[sgprLoopCounterL], s[sgprSizesSum+0], 4 // s[sgprLoopCounterL] = s[sgprSizesSum+0] / 16
s_mov_b32 s[sgprOrigLoopCounter], s[sgprLoopCounterL] // copy loop counter

/* local read addresses: init pointers a */


/* local read addresses: init pointers b */


/* localReadInitPointers */


/* prefetch: global -> local */

s_cmp_eq_u32 s[sgprLoopCounterL], 0                // at last iteration?
s_cbranch_scc1 ShadowInitStart_10                  // skip to ShadowInitStart iter b/c numIter==0


_buffer_load_b128 v[vgprG2LB+0:vgprG2LB+0+3], v[vgprGlobalReadOffsetB+0], s[sgprSrdB:sgprSrdB+3], 0, offen offset:0 // G -> Reg 0_0_0_0
_buffer_load_b128 v[vgprG2LB+4:vgprG2LB+4+3], v[vgprGlobalReadOffsetB+1], s[sgprSrdB:sgprSrdB+3], 0, offen offset:0 // G -> Reg 0_0_1_0


_buffer_load_b128 v[vgprG2LA0+0:vgprG2LA0+0+3], v[vgprGlobalReadOffsetA+0], s[sgprSrdA:sgprSrdA+3], 0, offen offset:0 // G -> Reg 0_0_0_0
_buffer_load_b128 v[vgprG2LA0+4:vgprG2LA0+4+3], v[vgprGlobalReadOffsetA+1], s[sgprSrdA:sgprSrdA+3], 0, offen offset:0 // G -> Reg 0_0_1_0
_buffer_load_b128 v[vgprG2LA0+8:vgprG2LA0+8+3], v[vgprGlobalReadOffsetA+2], s[sgprSrdA:sgprSrdA+3], 0, offen offset:0 // G -> Reg 0_0_2_0
_buffer_load_b128 v[vgprG2LA0+12:vgprG2LA0+12+3], v[vgprGlobalReadOffsetA+3], s[sgprSrdA:sgprSrdA+3], 0, offen offset:0 // G -> Reg 0_0_3_0


/* global read inc A loopL */
s_add_u32 s[sgprSrdA+0], s[sgprSrdA+0], s[sgprGlobalReadIncsA+0] // gra SRD += inc(lower)
s_addc_u32  s[sgprSrdA+1], s[sgprSrdA+1], 0        // gra SRD += inc(upper)
s_sub_u32 s[sgprShadowLimitA+0], s[sgprShadowLimitA+0], s[sgprGlobalReadIncsA+0] // limit -= inc)
s_subb_u32 s[sgprShadowLimitA+1], s[sgprShadowLimitA+1], 0 // limit -= inc)
s_cmp_eq_u32 s[sgprShadowLimitA+1], 0              // are we within 2^32?
s_cmov_b32 s[sgprSrdA+2], s[sgprShadowLimitA+0]    // Move shadow to real if we are within 2^32

/* global read inc B loopL */
s_add_u32 s[sgprSrdB+0], s[sgprSrdB+0], s[sgprGlobalReadIncsB+0] // gra SRD += inc(lower)
s_addc_u32  s[sgprSrdB+1], s[sgprSrdB+1], 0        // gra SRD += inc(upper)
s_sub_u32 s[sgprShadowLimitB+0], s[sgprShadowLimitB+0], s[sgprGlobalReadIncsB+0] // limit -= inc)
s_subb_u32 s[sgprShadowLimitB+1], s[sgprShadowLimitB+1], 0 // limit -= inc)
s_cmp_eq_u32 s[sgprShadowLimitB+1], 0              // are we within 2^32?
s_cmov_b32 s[sgprSrdB+2], s[sgprShadowLimitB+0]    // Move shadow to real if we are within 2^32


/******************************************/
/* End setupNewTile, isPap=False             */
/******************************************/

ShadowInitStart_10: // 

s_mov_b32 s[sgprSrdD+2], BufferOOB                 // 
s_mov_b32 s[sgprSrdD+3], Srd127_96                 // Set bits 127_96 in post-loop SRD

s_mov_b32 s[sgprSrdC+2], BufferOOB                 // 
s_mov_b32 s[sgprSrdC+3], Srd127_96                 // Set bits 127_96 in post-loop SRD


s_mul_i32 s34, MT1, s[sgprWorkGroup1]              // <- wg1*MT1
s_mul_hi_u32 s33, s34, s[sgprStrideC1J]            // CScale s34 by Stride
s_mul_i32 s32, s34, s[sgprStrideC1J]               // CScale s34 by Stride
s_lshl_b64 s[32:33], s[32:33], 3                   // scale by bpe
s_add_u32 s[sgprSrdC+0], s[sgprSrdC+0], s32        // add lo to SRD
s_addc_u32 s[sgprSrdC+1], s[sgprSrdC+1], s33       // add hi to SRD
s_mul_hi_u32 s33, s34, s[sgprStrideD1J]            // Scale s34 by Stride
s_mul_i32 s32, s34, s[sgprStrideD1J]               // Scale s34 by Stride
s_lshl_b64 s[32:33], s[32:33], 3                   // scale by bpe
s_add_u32 s[sgprSrdD+0], s[sgprSrdD+0], s32        // add lo to SRD
s_addc_u32 s[sgprSrdD+1], s[sgprSrdD+1], s33       // add hi to SRD

s_mul_hi_u32 s33, s[sgprWorkGroup2], s[sgprStrideCK] // CScale s[sgprWorkGroup2] by Stride
s_mul_i32 s32, s[sgprWorkGroup2], s[sgprStrideCK]  // CScale s[sgprWorkGroup2] by Stride
s_lshl_b64 s[32:33], s[32:33], 3                   // scale by bpe
s_add_u32 s[sgprSrdC+0], s[sgprSrdC+0], s32        // add lo to SRD
s_addc_u32 s[sgprSrdC+1], s[sgprSrdC+1], s33       // add hi to SRD
s_mul_hi_u32 s33, s[sgprWorkGroup2], s[sgprStrideDK] // Scale s[sgprWorkGroup2] by Stride
s_mul_i32 s32, s[sgprWorkGroup2], s[sgprStrideDK]  // Scale s[sgprWorkGroup2] by Stride
s_lshl_b64 s[32:33], s[32:33], 3                   // scale by bpe
s_add_u32 s[sgprSrdD+0], s[sgprSrdD+0], s32        // add lo to SRD
s_addc_u32 s[sgprSrdD+1], s[sgprSrdD+1], s33       // add hi to SRD


	;; [unrolled: 1-line block ×3, first 2 shown]
/* initC: remove C-tile 0-64 from pool */

/* initC: remove AB-tile 64-96 from pool */
v_mov_b64 v[vgprValuC+0:vgprValuC+0+1], 0x0        // initC
v_mov_b64 v[vgprValuC+2:vgprValuC+2+1], 0x0        // initC
	;; [unrolled: 1-line block ×5, first 2 shown]
v_mov_b64 v[vgprValuC+10:vgprValuC+10+1], 0x0      // initC
v_mov_b64 v[vgprValuC+12:vgprValuC+12+1], 0x0      // initC
	;; [unrolled: 1-line block ×27, first 2 shown]

s_cmp_eq_u32 s[sgprLoopCounterL], 0                // at last iteration?

/* after InitC, skip to end of prefetch last iter if numIter==0 */
s_cbranch_scc0 label_NoBranch_11                   // Only branch on scc1
s_getpc_B64 s[32:33]                               // addr of next instr
s_add_i32 s34, PrefetchGlobalLastIterEnd_5, 0x4    // target branch offset
s_add_u32 s32, s32, s34                            // add target branch offset
s_addc_u32 s33, s33, 0                             // add high and carry
s_setpc_b64 s[32:33]                               // branch to PrefetchGlobalLastIterEnd_5
label_NoBranch_11:

s_waitcnt vmcnt(4)                                 // lgkmcnt=-1 vmcnt=4 8wait for global read


/* local write a */

/* local write b */
_ds_store_b128 v[vgprLocalWriteAddrB], v[vgprG2LB+0:vgprG2LB+0+3] offset:0 // lwoB_0_0_0_0 = (0*LSCB)*(MT1J+PAD) + (0*LSPB) = 0
_ds_store_b128 v[vgprLocalWriteAddrB], v[vgprG2LB+4:vgprG2LB+4+3] offset:5120 // lwoB_0_0_1_0 = (0*LSCB)*(MT1J+PAD) + (1*LSPB) = 5120


/* local write swap a */


	;; [unrolled: 1-line block ×3, first 2 shown]
/* local write swap b */


	;; [unrolled: 1-line block ×4, first 2 shown]
s_cmp_eq_u32 s[sgprLoopCounterL] 0x1               // PGR=2 but only 1 loop
s_cbranch_scc1 label_0012                          // PGR=2 but only 1 loop


_buffer_load_b128 v[vgprG2LB+0:vgprG2LB+0+3], v[vgprGlobalReadOffsetB+0], s[sgprSrdB:sgprSrdB+3], 0, offen offset:0 // G -> Reg 0_0_0_0
_buffer_load_b128 v[vgprG2LB+4:vgprG2LB+4+3], v[vgprGlobalReadOffsetB+1], s[sgprSrdB:sgprSrdB+3], 0, offen offset:0 // G -> Reg 0_0_1_0


_buffer_load_b128 v[vgprG2LA1+0:vgprG2LA1+0+3], v[vgprGlobalReadOffsetA+0], s[sgprSrdA:sgprSrdA+3], 0, offen offset:0 // G -> Reg 0_0_0_0
_buffer_load_b128 v[vgprG2LA1+4:vgprG2LA1+4+3], v[vgprGlobalReadOffsetA+1], s[sgprSrdA:sgprSrdA+3], 0, offen offset:0 // G -> Reg 0_0_1_0
_buffer_load_b128 v[vgprG2LA1+8:vgprG2LA1+8+3], v[vgprGlobalReadOffsetA+2], s[sgprSrdA:sgprSrdA+3], 0, offen offset:0 // G -> Reg 0_0_2_0
_buffer_load_b128 v[vgprG2LA1+12:vgprG2LA1+12+3], v[vgprGlobalReadOffsetA+3], s[sgprSrdA:sgprSrdA+3], 0, offen offset:0 // G -> Reg 0_0_3_0

label_0012:                                        // 

s_waitcnt lgkmcnt(0)                               // lgkmcnt=0 vmcnt=-10prefetch wait for local write

// Skip force waitcnt0
s_barrier //


/* local read prefetch a */


	;; [unrolled: 1-line block ×3, first 2 shown]
/* local read prefetch b */

_ds_load_b128 v[vgprValuB_X0_I0+0:vgprValuB_X0_I0+0+3], v[vgprLocalReadAddrB] offset:0 // L -> Reg lro=0 swapByteOffset=0 ti=16 vIdx=0 rIdx=0 oIdx=0 buffer=0 iui=0
_ds_load_b128 v[vgprValuB_X0_I0+4:vgprValuB_X0_I0+4+3], v[vgprLocalReadAddrB] offset:2560 // L -> Reg lro=0 swapByteOffset=0 ti=16 vIdx=1 rIdx=0 oIdx=0 buffer=0 iui=0
	;; [unrolled: 1-line block ×4, first 2 shown]


/* local read inc a */


	;; [unrolled: 1-line block ×3, first 2 shown]
/* local read inc b */

/* N/A, lro->8 */
/* self.localReadDoCntA 1 self.localReadDoCntB 1 */


	;; [unrolled: 1-line block ×3, first 2 shown]
/******************************************/
/* Unrolled Loop(s) - Begin               */
/******************************************/

openLoopL_13:
s_cmp_eq_u32 s[sgprLoopCounterL], 0x1              // LoopCounterL < EndCounter
s_cbranch_scc1 label_0014                          // PGR=2 but only 1 loop, toPGR1
s_cmp_le_u32 s[sgprLoopCounterL], 0x2              // LoopCounterL < EndCounter
s_cbranch_scc1 LoopEndL_evenexit_4                 // do not enter LoopL
LoopBeginL_1:


/******************************************/
/* Unrolled Loop 1/2 - Begin              */
/******************************************/

label_0015: // LoopCopy1 


/* Begin Each Unroll: Check VGPR.checkin for INT8 LW */


	;; [unrolled: 1-line block ×3, first 2 shown]
/* iter 0 */

s_waitcnt vmcnt(9)                                 // lgkmcnt=-1 vmcnt=9global read wait for DirectToVgpr

/*  grEndMfmaIndex:4, lwStartMfmaIndex:15, lwEndMfmaIndex:22  */
/*  numMfmaForLR:7, barrierMfmaIndex:24, LocalWritePerMfma:0.165 */
/*  mfmaIndex:0  */
s_waitcnt lgkmcnt(0)                               // lgkmcnt=0 vmcnt=-1wait for prior local read local write old=0, new=0 newLW=0 newLR=0
v_mfma_f64_16x16x4_f64 v[0+0:7+0], v[vgprValuB_X0_I0+0+0+0:vgprValuB_X0_I0+0+0+0+1], v[vgprG2LA+0+0:vgprG2LA+0+0+1], v[0:7]
/*  mfmaIndex:1  */
_ds_load_b128 v[vgprValuB_X2_I0+0:vgprValuB_X2_I0+0+3], v[vgprLocalReadAddrB] offset:64 // L -> Reg lro=8 swapByteOffset=0 ti=16 vIdx=0 rIdx=0 oIdx=0 buffer=2 iui=0

/* global read inc B loopL */
s_add_u32 s[sgprSrdB+0], s[sgprSrdB+0], s[sgprGlobalReadIncsB+0] // gra SRD += inc(lower)
s_addc_u32  s[sgprSrdB+1], s[sgprSrdB+1], 0        // gra SRD += inc(upper)
s_sub_u32 s[sgprShadowLimitB+0], s[sgprShadowLimitB+0], s[sgprGlobalReadIncsB+0] // limit -= inc)
v_mfma_f64_16x16x4_f64 v[16+0:23+0], v[vgprValuB_X0_I0+4+0+0:vgprValuB_X0_I0+4+0+0+1], v[vgprG2LA+0+0:vgprG2LA+0+0+1], v[16:23]
/*  mfmaIndex:2  */
_ds_load_b128 v[vgprValuB_X2_I0+4:vgprValuB_X2_I0+4+3], v[vgprLocalReadAddrB] offset:2624 // L -> Reg lro=8 swapByteOffset=0 ti=16 vIdx=1 rIdx=0 oIdx=0 buffer=2 iui=0
s_subb_u32 s[sgprShadowLimitB+1], s[sgprShadowLimitB+1], 0 // limit -= inc)
s_cmp_eq_u32 s[sgprShadowLimitB+1], 0              // are we within 2^32?
s_cmov_b32 s[sgprSrdB+2], s[sgprShadowLimitB+0]    // Move shadow to real if we are within 2^32
v_mfma_f64_16x16x4_f64 v[32+0:39+0], v[vgprValuB_X0_I0+8+0+0:vgprValuB_X0_I0+8+0+0+1], v[vgprG2LA+0+0:vgprG2LA+0+0+1], v[32:39]
/*  mfmaIndex:3  */
_ds_load_b128 v[vgprValuB_X2_I0+8:vgprValuB_X2_I0+8+3], v[vgprLocalReadAddrB] offset:5184 // L -> Reg lro=8 swapByteOffset=0 ti=16 vIdx=2 rIdx=0 oIdx=0 buffer=2 iui=0

/* global read inc A loopL */
s_add_u32 s[sgprSrdA+0], s[sgprSrdA+0], s[sgprGlobalReadIncsA+0] // gra SRD += inc(lower)
s_addc_u32  s[sgprSrdA+1], s[sgprSrdA+1], 0        // gra SRD += inc(upper)
s_sub_u32 s[sgprShadowLimitA+0], s[sgprShadowLimitA+0], s[sgprGlobalReadIncsA+0] // limit -= inc)
v_mfma_f64_16x16x4_f64 v[48+0:55+0], v[vgprValuB_X0_I0+12+0+0:vgprValuB_X0_I0+12+0+0+1], v[vgprG2LA+0+0:vgprG2LA+0+0+1], v[48:55]
/*  mfmaIndex:4  */
_ds_load_b128 v[vgprValuB_X2_I0+12:vgprValuB_X2_I0+12+3], v[vgprLocalReadAddrB] offset:7744 // L -> Reg lro=8 swapByteOffset=0 ti=16 vIdx=3 rIdx=0 oIdx=0 buffer=2 iui=0
/* localReadsVacancy: latencyLeft 1 */
s_subb_u32 s[sgprShadowLimitA+1], s[sgprShadowLimitA+1], 0 // limit -= inc)
s_cmp_eq_u32 s[sgprShadowLimitA+1], 0              // are we within 2^32?
s_cmov_b32 s[sgprSrdA+2], s[sgprShadowLimitA+0]    // Move shadow to real if we are within 2^32
v_mfma_f64_16x16x4_f64 v[56+0:63+0], v[vgprValuB_X0_I0+12+0+0:vgprValuB_X0_I0+12+0+0+1], v[vgprG2LA+2+0:vgprG2LA+2+0+1], v[56:63]
/*  mfmaIndex:5  */
/* localReadsVacancy: latencyLeft 5 */
v_mfma_f64_16x16x4_f64 v[40+0:47+0], v[vgprValuB_X0_I0+8+0+0:vgprValuB_X0_I0+8+0+0+1], v[vgprG2LA+2+0:vgprG2LA+2+0+1], v[40:47]
/*  mfmaIndex:6  */
/* localReadsVacancy: latencyLeft 5 */
	;; [unrolled: 3-line block ×3, first 2 shown]
v_mfma_f64_16x16x4_f64 v[8+0:15+0], v[vgprValuB_X0_I0+0+0+0:vgprValuB_X0_I0+0+0+0+1], v[vgprG2LA+2+0:vgprG2LA+2+0+1], v[8:15]
/* numPrefetchIter=0 */
/* dataAtIterA=-1 numReadsIterA=1 skipReadsIterA=1 readsPerIterA=1 */
/* dataAtIterB=-1 numReadsIterB=1 skipReadsIterB=1 readsPerIterB=4 */


/* iter 1 */

s_waitcnt vmcnt(8)                                 // lgkmcnt=-1 vmcnt=8global read wait for DirectToVgpr

/*  grEndMfmaIndex:4, lwStartMfmaIndex:15, lwEndMfmaIndex:22  */
/*  numMfmaForLR:7, barrierMfmaIndex:24, LocalWritePerMfma:0.165 */
/*  mfmaIndex:8  */
/* localReadsVacancy: latencyLeft 5 */
v_mfma_f64_16x16x4_f64 v[0+0:7+0], v[vgprValuB_X0_I0+0+2+0:vgprValuB_X0_I0+0+2+0+1], v[vgprG2LA+4+0:vgprG2LA+4+0+1], v[0:7]
/*  mfmaIndex:9  */
/* localReadsVacancy: latencyLeft 5 */
v_mfma_f64_16x16x4_f64 v[16+0:23+0], v[vgprValuB_X0_I0+4+2+0:vgprValuB_X0_I0+4+2+0+1], v[vgprG2LA+4+0:vgprG2LA+4+0+1], v[16:23]
	;; [unrolled: 3-line block ×6, first 2 shown]
/*  mfmaIndex:14  */
/* localReadsVacancy: latencyLeft 5 */
/* 1 LDS buffer: read-sync-write */
s_waitcnt lgkmcnt(0)                               // 
s_barrier                                          // 
v_mfma_f64_16x16x4_f64 v[24+0:31+0], v[vgprValuB_X0_I0+4+2+0:vgprValuB_X0_I0+4+2+0+1], v[vgprG2LA+6+0:vgprG2LA+6+0+1], v[24:31]
/*  mfmaIndex:15  */
/* sched write - iter 1 writesPerItem=1 */
s_waitcnt vmcnt(0)                                 // lgkmcnt=-1 vmcnt=0wait for global read before writing to local
_ds_store_b128 v[vgprLocalWriteAddrB], v[vgprG2LB+0:vgprG2LB+0+3] offset:0 // lwoB_0_0_0_0 = (0*LSCB)*(MT1J+PAD) + (0*LSPB) = 0
v_mfma_f64_16x16x4_f64 v[8+0:15+0], v[vgprValuB_X0_I0+0+2+0:vgprValuB_X0_I0+0+2+0+1], v[vgprG2LA+6+0:vgprG2LA+6+0+1], v[8:15]


/* iter 2 (reset local read pointers iteration)  (swap and reset local write pointers iteration)  (swap local read pointers iteration)  */

/*  grEndMfmaIndex:4, lwStartMfmaIndex:15, lwEndMfmaIndex:22  */
/*  numMfmaForLR:7, barrierMfmaIndex:24, LocalWritePerMfma:0.165 */
/*  mfmaIndex:16  */
_buffer_load_b128 v[vgprG2LB+0:vgprG2LB+0+3], v[vgprGlobalReadOffsetB+0], s[sgprSrdB:sgprSrdB+3], 0, offen offset:0 // G -> Reg 0_0_0_0
v_mfma_f64_16x16x4_f64 v[0+0:7+0], v[vgprValuB_X2_I0+0+0+0:vgprValuB_X2_I0+0+0+0+1], v[vgprG2LA+8+0:vgprG2LA+8+0+1], v[0:7]
/*  mfmaIndex:17  */
v_mfma_f64_16x16x4_f64 v[16+0:23+0], v[vgprValuB_X2_I0+4+0+0:vgprValuB_X2_I0+4+0+0+1], v[vgprG2LA+8+0:vgprG2LA+8+0+1], v[16:23]
/*  mfmaIndex:18  */
	;; [unrolled: 2-line block ×5, first 2 shown]
/* sched write - iter 2 writesPerItem=1 */
s_waitcnt vmcnt(0)                                 // lgkmcnt=-1 vmcnt=0wait for global read before writing to local
_ds_store_b128 v[vgprLocalWriteAddrB], v[vgprG2LB+4:vgprG2LB+4+3] offset:5120 // lwoB_0_0_1_0 = (0*LSCB)*(MT1J+PAD) + (1*LSPB) = 5120
v_mfma_f64_16x16x4_f64 v[40+0:47+0], v[vgprValuB_X2_I0+8+0+0:vgprValuB_X2_I0+8+0+0+1], v[vgprG2LA+10+0:vgprG2LA+10+0+1], v[40:47]
/*  mfmaIndex:22  */
_buffer_load_b128 v[vgprG2LB+4:vgprG2LB+4+3], v[vgprGlobalReadOffsetB+1], s[sgprSrdB:sgprSrdB+3], 0, offen offset:0 // G -> Reg 0_0_1_0

/* local write swap offsets a */

/* local write swap offsets b */
v_mfma_f64_16x16x4_f64 v[24+0:31+0], v[vgprValuB_X2_I0+4+0+0:vgprValuB_X2_I0+4+0+0+1], v[vgprG2LA+10+0:vgprG2LA+10+0+1], v[24:31]
/*  mfmaIndex:23  */

/* local read swap offsets a */

/* local read swap offsets b */

/* local read init pointers a */

/* local read init pointers b */

/* localReadInitPointers */
v_mfma_f64_16x16x4_f64 v[8+0:15+0], v[vgprValuB_X2_I0+0+0+0:vgprValuB_X2_I0+0+0+0+1], v[vgprG2LA+10+0:vgprG2LA+10+0+1], v[8:15]


/* iter 3 */

/*  grEndMfmaIndex:4, lwStartMfmaIndex:15, lwEndMfmaIndex:22  */
/*  numMfmaForLR:7, barrierMfmaIndex:24, LocalWritePerMfma:0.165 */
/*  mfmaIndex:24  */
s_waitcnt lgkmcnt(0)                               // lgkmcnt=0 vmcnt=-13wait for local write
s_barrier
v_mfma_f64_16x16x4_f64 v[0+0:7+0], v[vgprValuB_X2_I0+0+2+0:vgprValuB_X2_I0+0+2+0+1], v[vgprG2LA+12+0:vgprG2LA+12+0+1], v[0:7]
/*  mfmaIndex:25  */
_ds_load_b128 v[vgprValuB_X0_I0+0:vgprValuB_X0_I0+0+3], v[vgprLocalReadAddrB] offset:0 // L -> Reg lro=0 swapByteOffset=0 ti=16 vIdx=0 rIdx=0 oIdx=0 buffer=0 iui=0
v_mfma_f64_16x16x4_f64 v[16+0:23+0], v[vgprValuB_X2_I0+4+2+0:vgprValuB_X2_I0+4+2+0+1], v[vgprG2LA+12+0:vgprG2LA+12+0+1], v[16:23]
_buffer_load_b128 v[vgprG2LA0+0:vgprG2LA0+0+3], v[vgprGlobalReadOffsetA+0], s[sgprSrdA:sgprSrdA+3], 0, offen offset:0 // G -> Reg 0_0_0_0
/*  mfmaIndex:26  */
_ds_load_b128 v[vgprValuB_X0_I0+4:vgprValuB_X0_I0+4+3], v[vgprLocalReadAddrB] offset:2560 // L -> Reg lro=0 swapByteOffset=0 ti=16 vIdx=1 rIdx=0 oIdx=0 buffer=0 iui=0
v_mfma_f64_16x16x4_f64 v[32+0:39+0], v[vgprValuB_X2_I0+8+2+0:vgprValuB_X2_I0+8+2+0+1], v[vgprG2LA+12+0:vgprG2LA+12+0+1], v[32:39]
/*  mfmaIndex:27  */
_ds_load_b128 v[vgprValuB_X0_I0+8:vgprValuB_X0_I0+8+3], v[vgprLocalReadAddrB] offset:5120 // L -> Reg lro=0 swapByteOffset=0 ti=16 vIdx=2 rIdx=0 oIdx=0 buffer=0 iui=0
v_mfma_f64_16x16x4_f64 v[48+0:55+0], v[vgprValuB_X2_I0+12+2+0:vgprValuB_X2_I0+12+2+0+1], v[vgprG2LA+12+0:vgprG2LA+12+0+1], v[48:55]
_buffer_load_b128 v[vgprG2LA0+4:vgprG2LA0+4+3], v[vgprGlobalReadOffsetA+1], s[sgprSrdA:sgprSrdA+3], 0, offen offset:0 // G -> Reg 0_0_1_0
/*  mfmaIndex:28  */
_ds_load_b128 v[vgprValuB_X0_I0+12:vgprValuB_X0_I0+12+3], v[vgprLocalReadAddrB] offset:7680 // L -> Reg lro=0 swapByteOffset=0 ti=16 vIdx=3 rIdx=0 oIdx=0 buffer=0 iui=0
v_mfma_f64_16x16x4_f64 v[8+0:15+0], v[vgprValuB_X2_I0+0+2+0:vgprValuB_X2_I0+0+2+0+1], v[vgprG2LA+14+0:vgprG2LA+14+0+1], v[8:15]
/*  mfmaIndex:29  */
v_mfma_f64_16x16x4_f64 v[24+0:31+0], v[vgprValuB_X2_I0+4+2+0:vgprValuB_X2_I0+4+2+0+1], v[vgprG2LA+14+0:vgprG2LA+14+0+1], v[24:31]
_buffer_load_b128 v[vgprG2LA0+8:vgprG2LA0+8+3], v[vgprGlobalReadOffsetA+2], s[sgprSrdA:sgprSrdA+3], 0, offen offset:0 // G -> Reg 0_0_2_0
/*  mfmaIndex:30  */
v_mfma_f64_16x16x4_f64 v[40+0:47+0], v[vgprValuB_X2_I0+8+2+0:vgprValuB_X2_I0+8+2+0+1], v[vgprG2LA+14+0:vgprG2LA+14+0+1], v[40:47]
/*  mfmaIndex:31  */
v_mfma_f64_16x16x4_f64 v[56+0:63+0], v[vgprValuB_X2_I0+12+2+0:vgprValuB_X2_I0+12+2+0+1], v[vgprG2LA+14+0:vgprG2LA+14+0+1], v[56:63]
_buffer_load_b128 v[vgprG2LA0+12:vgprG2LA0+12+3], v[vgprGlobalReadOffsetA+3], s[sgprSrdA:sgprSrdA+3], 0, offen offset:0 // G -> Reg 0_0_3_0


/******************************************/
/* Unrolled Loop - End 1/2                */
/******************************************/


/* closeLoop loopL finalLoop=0 tailLoop=0 */
s_sub_u32 s[sgprLoopCounterL], s[sgprLoopCounterL], 1 // dec counterL
s_cmp_eq_i32 s[sgprLoopCounterL], 0x2              // counterL==2
s_cbranch_scc1 LoopEndL_oddexit_3                  // exit LoopL


/******************************************/
/* Unrolled Loop 2/2 - Begin              */
/******************************************/

label_0016: // LoopCopy2 


/* Begin Each Unroll: Check VGPR.checkin for INT8 LW */


	;; [unrolled: 1-line block ×3, first 2 shown]
/* iter 0 */

s_waitcnt vmcnt(9)                                 // lgkmcnt=-1 vmcnt=9global read wait for DirectToVgpr

/*  grEndMfmaIndex:4, lwStartMfmaIndex:15, lwEndMfmaIndex:22  */
/*  numMfmaForLR:7, barrierMfmaIndex:24, LocalWritePerMfma:0.165 */
/*  mfmaIndex:0  */
s_waitcnt lgkmcnt(0)                               // lgkmcnt=0 vmcnt=-1wait for prior local read local write old=0, new=0 newLW=0 newLR=0
v_mfma_f64_16x16x4_f64 v[0+0:7+0], v[vgprValuB_X0_I0+0+0+0:vgprValuB_X0_I0+0+0+0+1], v[vgprG2LA+16+0:vgprG2LA+16+0+1], v[0:7]
/*  mfmaIndex:1  */
_ds_load_b128 v[vgprValuB_X2_I0+0:vgprValuB_X2_I0+0+3], v[vgprLocalReadAddrB] offset:64 // L -> Reg lro=8 swapByteOffset=0 ti=16 vIdx=0 rIdx=0 oIdx=0 buffer=2 iui=0

/* global read inc B loopL */
s_add_u32 s[sgprSrdB+0], s[sgprSrdB+0], s[sgprGlobalReadIncsB+0] // gra SRD += inc(lower)
s_addc_u32  s[sgprSrdB+1], s[sgprSrdB+1], 0        // gra SRD += inc(upper)
s_sub_u32 s[sgprShadowLimitB+0], s[sgprShadowLimitB+0], s[sgprGlobalReadIncsB+0] // limit -= inc)
v_mfma_f64_16x16x4_f64 v[16+0:23+0], v[vgprValuB_X0_I0+4+0+0:vgprValuB_X0_I0+4+0+0+1], v[vgprG2LA+16+0:vgprG2LA+16+0+1], v[16:23]
/*  mfmaIndex:2  */
_ds_load_b128 v[vgprValuB_X2_I0+4:vgprValuB_X2_I0+4+3], v[vgprLocalReadAddrB] offset:2624 // L -> Reg lro=8 swapByteOffset=0 ti=16 vIdx=1 rIdx=0 oIdx=0 buffer=2 iui=0
s_subb_u32 s[sgprShadowLimitB+1], s[sgprShadowLimitB+1], 0 // limit -= inc)
s_cmp_eq_u32 s[sgprShadowLimitB+1], 0              // are we within 2^32?
s_cmov_b32 s[sgprSrdB+2], s[sgprShadowLimitB+0]    // Move shadow to real if we are within 2^32
v_mfma_f64_16x16x4_f64 v[32+0:39+0], v[vgprValuB_X0_I0+8+0+0:vgprValuB_X0_I0+8+0+0+1], v[vgprG2LA+16+0:vgprG2LA+16+0+1], v[32:39]
/*  mfmaIndex:3  */
_ds_load_b128 v[vgprValuB_X2_I0+8:vgprValuB_X2_I0+8+3], v[vgprLocalReadAddrB] offset:5184 // L -> Reg lro=8 swapByteOffset=0 ti=16 vIdx=2 rIdx=0 oIdx=0 buffer=2 iui=0

/* global read inc A loopL */
s_add_u32 s[sgprSrdA+0], s[sgprSrdA+0], s[sgprGlobalReadIncsA+0] // gra SRD += inc(lower)
s_addc_u32  s[sgprSrdA+1], s[sgprSrdA+1], 0        // gra SRD += inc(upper)
s_sub_u32 s[sgprShadowLimitA+0], s[sgprShadowLimitA+0], s[sgprGlobalReadIncsA+0] // limit -= inc)
v_mfma_f64_16x16x4_f64 v[48+0:55+0], v[vgprValuB_X0_I0+12+0+0:vgprValuB_X0_I0+12+0+0+1], v[vgprG2LA+16+0:vgprG2LA+16+0+1], v[48:55]
/*  mfmaIndex:4  */
_ds_load_b128 v[vgprValuB_X2_I0+12:vgprValuB_X2_I0+12+3], v[vgprLocalReadAddrB] offset:7744 // L -> Reg lro=8 swapByteOffset=0 ti=16 vIdx=3 rIdx=0 oIdx=0 buffer=2 iui=0
/* localReadsVacancy: latencyLeft 1 */
s_subb_u32 s[sgprShadowLimitA+1], s[sgprShadowLimitA+1], 0 // limit -= inc)
s_cmp_eq_u32 s[sgprShadowLimitA+1], 0              // are we within 2^32?
s_cmov_b32 s[sgprSrdA+2], s[sgprShadowLimitA+0]    // Move shadow to real if we are within 2^32
v_mfma_f64_16x16x4_f64 v[56+0:63+0], v[vgprValuB_X0_I0+12+0+0:vgprValuB_X0_I0+12+0+0+1], v[vgprG2LA+18+0:vgprG2LA+18+0+1], v[56:63]
/*  mfmaIndex:5  */
/* localReadsVacancy: latencyLeft 5 */
v_mfma_f64_16x16x4_f64 v[40+0:47+0], v[vgprValuB_X0_I0+8+0+0:vgprValuB_X0_I0+8+0+0+1], v[vgprG2LA+18+0:vgprG2LA+18+0+1], v[40:47]
/*  mfmaIndex:6  */
/* localReadsVacancy: latencyLeft 5 */
	;; [unrolled: 3-line block ×3, first 2 shown]
v_mfma_f64_16x16x4_f64 v[8+0:15+0], v[vgprValuB_X0_I0+0+0+0:vgprValuB_X0_I0+0+0+0+1], v[vgprG2LA+18+0:vgprG2LA+18+0+1], v[8:15]
/* numPrefetchIter=0 */
/* dataAtIterA=-1 numReadsIterA=1 skipReadsIterA=1 readsPerIterA=1 */
/* dataAtIterB=-1 numReadsIterB=1 skipReadsIterB=1 readsPerIterB=4 */


/* iter 1 */

s_waitcnt vmcnt(8)                                 // lgkmcnt=-1 vmcnt=8global read wait for DirectToVgpr

/*  grEndMfmaIndex:4, lwStartMfmaIndex:15, lwEndMfmaIndex:22  */
/*  numMfmaForLR:7, barrierMfmaIndex:24, LocalWritePerMfma:0.165 */
/*  mfmaIndex:8  */
/* localReadsVacancy: latencyLeft 5 */
v_mfma_f64_16x16x4_f64 v[0+0:7+0], v[vgprValuB_X0_I0+0+2+0:vgprValuB_X0_I0+0+2+0+1], v[vgprG2LA+20+0:vgprG2LA+20+0+1], v[0:7]
/*  mfmaIndex:9  */
/* localReadsVacancy: latencyLeft 5 */
v_mfma_f64_16x16x4_f64 v[16+0:23+0], v[vgprValuB_X0_I0+4+2+0:vgprValuB_X0_I0+4+2+0+1], v[vgprG2LA+20+0:vgprG2LA+20+0+1], v[16:23]
	;; [unrolled: 3-line block ×6, first 2 shown]
/*  mfmaIndex:14  */
/* localReadsVacancy: latencyLeft 5 */
/* 1 LDS buffer: read-sync-write */
s_waitcnt lgkmcnt(0)                               // 
s_barrier                                          // 
v_mfma_f64_16x16x4_f64 v[24+0:31+0], v[vgprValuB_X0_I0+4+2+0:vgprValuB_X0_I0+4+2+0+1], v[vgprG2LA+22+0:vgprG2LA+22+0+1], v[24:31]
/*  mfmaIndex:15  */
/* sched write - iter 1 writesPerItem=1 */
s_waitcnt vmcnt(0)                                 // lgkmcnt=-1 vmcnt=0wait for global read before writing to local
_ds_store_b128 v[vgprLocalWriteAddrB], v[vgprG2LB+0:vgprG2LB+0+3] offset:0 // lwoB_0_0_0_0 = (0*LSCB)*(MT1J+PAD) + (0*LSPB) = 0
v_mfma_f64_16x16x4_f64 v[8+0:15+0], v[vgprValuB_X0_I0+0+2+0:vgprValuB_X0_I0+0+2+0+1], v[vgprG2LA+22+0:vgprG2LA+22+0+1], v[8:15]


/* iter 2 (reset local read pointers iteration)  (swap and reset local write pointers iteration)  (swap local read pointers iteration)  */

/*  grEndMfmaIndex:4, lwStartMfmaIndex:15, lwEndMfmaIndex:22  */
/*  numMfmaForLR:7, barrierMfmaIndex:24, LocalWritePerMfma:0.165 */
/*  mfmaIndex:16  */
_buffer_load_b128 v[vgprG2LB+0:vgprG2LB+0+3], v[vgprGlobalReadOffsetB+0], s[sgprSrdB:sgprSrdB+3], 0, offen offset:0 // G -> Reg 0_0_0_0
v_mfma_f64_16x16x4_f64 v[0+0:7+0], v[vgprValuB_X2_I0+0+0+0:vgprValuB_X2_I0+0+0+0+1], v[vgprG2LA+24+0:vgprG2LA+24+0+1], v[0:7]
/*  mfmaIndex:17  */
v_mfma_f64_16x16x4_f64 v[16+0:23+0], v[vgprValuB_X2_I0+4+0+0:vgprValuB_X2_I0+4+0+0+1], v[vgprG2LA+24+0:vgprG2LA+24+0+1], v[16:23]
/*  mfmaIndex:18  */
	;; [unrolled: 2-line block ×5, first 2 shown]
/* sched write - iter 2 writesPerItem=1 */
s_waitcnt vmcnt(0)                                 // lgkmcnt=-1 vmcnt=0wait for global read before writing to local
_ds_store_b128 v[vgprLocalWriteAddrB], v[vgprG2LB+4:vgprG2LB+4+3] offset:5120 // lwoB_0_0_1_0 = (0*LSCB)*(MT1J+PAD) + (1*LSPB) = 5120
v_mfma_f64_16x16x4_f64 v[40+0:47+0], v[vgprValuB_X2_I0+8+0+0:vgprValuB_X2_I0+8+0+0+1], v[vgprG2LA+26+0:vgprG2LA+26+0+1], v[40:47]
/*  mfmaIndex:22  */
_buffer_load_b128 v[vgprG2LB+4:vgprG2LB+4+3], v[vgprGlobalReadOffsetB+1], s[sgprSrdB:sgprSrdB+3], 0, offen offset:0 // G -> Reg 0_0_1_0

/* local write swap offsets a */

/* local write swap offsets b */
v_mfma_f64_16x16x4_f64 v[24+0:31+0], v[vgprValuB_X2_I0+4+0+0:vgprValuB_X2_I0+4+0+0+1], v[vgprG2LA+26+0:vgprG2LA+26+0+1], v[24:31]
/*  mfmaIndex:23  */

/* local read swap offsets a */

/* local read swap offsets b */

/* local read init pointers a */

/* local read init pointers b */

/* localReadInitPointers */
v_mfma_f64_16x16x4_f64 v[8+0:15+0], v[vgprValuB_X2_I0+0+0+0:vgprValuB_X2_I0+0+0+0+1], v[vgprG2LA+26+0:vgprG2LA+26+0+1], v[8:15]


/* iter 3 */

/*  grEndMfmaIndex:4, lwStartMfmaIndex:15, lwEndMfmaIndex:22  */
/*  numMfmaForLR:7, barrierMfmaIndex:24, LocalWritePerMfma:0.165 */
/*  mfmaIndex:24  */
s_waitcnt lgkmcnt(0)                               // lgkmcnt=0 vmcnt=-13wait for local write
s_barrier
v_mfma_f64_16x16x4_f64 v[0+0:7+0], v[vgprValuB_X2_I0+0+2+0:vgprValuB_X2_I0+0+2+0+1], v[vgprG2LA+28+0:vgprG2LA+28+0+1], v[0:7]
/*  mfmaIndex:25  */
_ds_load_b128 v[vgprValuB_X0_I0+0:vgprValuB_X0_I0+0+3], v[vgprLocalReadAddrB] offset:0 // L -> Reg lro=0 swapByteOffset=0 ti=16 vIdx=0 rIdx=0 oIdx=0 buffer=0 iui=0
v_mfma_f64_16x16x4_f64 v[16+0:23+0], v[vgprValuB_X2_I0+4+2+0:vgprValuB_X2_I0+4+2+0+1], v[vgprG2LA+28+0:vgprG2LA+28+0+1], v[16:23]
_buffer_load_b128 v[vgprG2LA1+0:vgprG2LA1+0+3], v[vgprGlobalReadOffsetA+0], s[sgprSrdA:sgprSrdA+3], 0, offen offset:0 // G -> Reg 0_0_0_0
/*  mfmaIndex:26  */
_ds_load_b128 v[vgprValuB_X0_I0+4:vgprValuB_X0_I0+4+3], v[vgprLocalReadAddrB] offset:2560 // L -> Reg lro=0 swapByteOffset=0 ti=16 vIdx=1 rIdx=0 oIdx=0 buffer=0 iui=0
v_mfma_f64_16x16x4_f64 v[32+0:39+0], v[vgprValuB_X2_I0+8+2+0:vgprValuB_X2_I0+8+2+0+1], v[vgprG2LA+28+0:vgprG2LA+28+0+1], v[32:39]
/*  mfmaIndex:27  */
_ds_load_b128 v[vgprValuB_X0_I0+8:vgprValuB_X0_I0+8+3], v[vgprLocalReadAddrB] offset:5120 // L -> Reg lro=0 swapByteOffset=0 ti=16 vIdx=2 rIdx=0 oIdx=0 buffer=0 iui=0
v_mfma_f64_16x16x4_f64 v[48+0:55+0], v[vgprValuB_X2_I0+12+2+0:vgprValuB_X2_I0+12+2+0+1], v[vgprG2LA+28+0:vgprG2LA+28+0+1], v[48:55]
_buffer_load_b128 v[vgprG2LA1+4:vgprG2LA1+4+3], v[vgprGlobalReadOffsetA+1], s[sgprSrdA:sgprSrdA+3], 0, offen offset:0 // G -> Reg 0_0_1_0
/*  mfmaIndex:28  */
_ds_load_b128 v[vgprValuB_X0_I0+12:vgprValuB_X0_I0+12+3], v[vgprLocalReadAddrB] offset:7680 // L -> Reg lro=0 swapByteOffset=0 ti=16 vIdx=3 rIdx=0 oIdx=0 buffer=0 iui=0
v_mfma_f64_16x16x4_f64 v[8+0:15+0], v[vgprValuB_X2_I0+0+2+0:vgprValuB_X2_I0+0+2+0+1], v[vgprG2LA+30+0:vgprG2LA+30+0+1], v[8:15]
/*  mfmaIndex:29  */
v_mfma_f64_16x16x4_f64 v[24+0:31+0], v[vgprValuB_X2_I0+4+2+0:vgprValuB_X2_I0+4+2+0+1], v[vgprG2LA+30+0:vgprG2LA+30+0+1], v[24:31]
_buffer_load_b128 v[vgprG2LA1+8:vgprG2LA1+8+3], v[vgprGlobalReadOffsetA+2], s[sgprSrdA:sgprSrdA+3], 0, offen offset:0 // G -> Reg 0_0_2_0
/*  mfmaIndex:30  */
v_mfma_f64_16x16x4_f64 v[40+0:47+0], v[vgprValuB_X2_I0+8+2+0:vgprValuB_X2_I0+8+2+0+1], v[vgprG2LA+30+0:vgprG2LA+30+0+1], v[40:47]
/*  mfmaIndex:31  */
v_mfma_f64_16x16x4_f64 v[56+0:63+0], v[vgprValuB_X2_I0+12+2+0:vgprValuB_X2_I0+12+2+0+1], v[vgprG2LA+30+0:vgprG2LA+30+0+1], v[56:63]
_buffer_load_b128 v[vgprG2LA1+12:vgprG2LA1+12+3], v[vgprGlobalReadOffsetA+3], s[sgprSrdA:sgprSrdA+3], 0, offen offset:0 // G -> Reg 0_0_3_0


/******************************************/
/* Unrolled Loop - End 2/2 (final)        */
/******************************************/


/* closeLoop loopL finalLoop=1 tailLoop=0 */
s_sub_u32 s[sgprLoopCounterL], s[sgprLoopCounterL], 1 // dec counterL
s_cmp_eq_i32 s[sgprLoopCounterL], 0x2              // counterL==2
s_cbranch_scc0 LoopBeginL_1                        // restart LoopL
LoopEndL_evenexit_4: // unroll loop eveniter exit
s_branch LoopEndL_2                                // exit unroll loopL (and skip second exit code)
LoopEndL_oddexit_3: // unroll loop odditer exit

/* Select high bank of LDS */
LoopEndL_2:


/* Before NLL: Check VGPR.checkin for INT8 LW */


/******************************************/
/* Ord. NoGlobalLoadLoop - Begin                                      */
/******************************************/


s_and_b32 s31, s[sgprOrigLoopCounter], 1           // test if OrigLoopCounter is Odd ?
s_cbranch_scc0 label_0017                          // Skip odd code if OrigLoopCounter is Even


/* iter 0 */

s_waitcnt vmcnt(9)                                 // lgkmcnt=-1 vmcnt=9global read wait for DirectToVgpr

/*  grEndMfmaIndex:4, lwStartMfmaIndex:15, lwEndMfmaIndex:22  */
/*  numMfmaForLR:7, barrierMfmaIndex:24, LocalWritePerMfma:0.165 */
/*  mfmaIndex:0  */
s_waitcnt lgkmcnt(0)                               // lgkmcnt=0 vmcnt=-1wait for prior local read local write old=0, new=0 newLW=0 newLR=0
v_mfma_f64_16x16x4_f64 v[0+0:7+0], v[vgprValuB_X0_I0+0+0+0:vgprValuB_X0_I0+0+0+0+1], v[vgprG2LA+16+0:vgprG2LA+16+0+1], v[0:7]
/*  mfmaIndex:1  */
_ds_load_b128 v[vgprValuB_X2_I0+0:vgprValuB_X2_I0+0+3], v[vgprLocalReadAddrB] offset:64 // L -> Reg lro=8 swapByteOffset=0 ti=16 vIdx=0 rIdx=0 oIdx=0 buffer=2 iui=0

/* global read inc B loopL */
s_add_u32 s[sgprSrdB+0], s[sgprSrdB+0], s[sgprGlobalReadIncsB+0] // gra SRD += inc(lower)
s_addc_u32  s[sgprSrdB+1], s[sgprSrdB+1], 0        // gra SRD += inc(upper)
s_sub_u32 s[sgprShadowLimitB+0], s[sgprShadowLimitB+0], s[sgprGlobalReadIncsB+0] // limit -= inc)
v_mfma_f64_16x16x4_f64 v[16+0:23+0], v[vgprValuB_X0_I0+4+0+0:vgprValuB_X0_I0+4+0+0+1], v[vgprG2LA+16+0:vgprG2LA+16+0+1], v[16:23]
/*  mfmaIndex:2  */
_ds_load_b128 v[vgprValuB_X2_I0+4:vgprValuB_X2_I0+4+3], v[vgprLocalReadAddrB] offset:2624 // L -> Reg lro=8 swapByteOffset=0 ti=16 vIdx=1 rIdx=0 oIdx=0 buffer=2 iui=0
s_subb_u32 s[sgprShadowLimitB+1], s[sgprShadowLimitB+1], 0 // limit -= inc)
s_cmp_eq_u32 s[sgprShadowLimitB+1], 0              // are we within 2^32?
s_cmov_b32 s[sgprSrdB+2], s[sgprShadowLimitB+0]    // Move shadow to real if we are within 2^32
v_mfma_f64_16x16x4_f64 v[32+0:39+0], v[vgprValuB_X0_I0+8+0+0:vgprValuB_X0_I0+8+0+0+1], v[vgprG2LA+16+0:vgprG2LA+16+0+1], v[32:39]
/*  mfmaIndex:3  */
_ds_load_b128 v[vgprValuB_X2_I0+8:vgprValuB_X2_I0+8+3], v[vgprLocalReadAddrB] offset:5184 // L -> Reg lro=8 swapByteOffset=0 ti=16 vIdx=2 rIdx=0 oIdx=0 buffer=2 iui=0

/* global read inc A loopL */
s_add_u32 s[sgprSrdA+0], s[sgprSrdA+0], s[sgprGlobalReadIncsA+0] // gra SRD += inc(lower)
s_addc_u32  s[sgprSrdA+1], s[sgprSrdA+1], 0        // gra SRD += inc(upper)
s_sub_u32 s[sgprShadowLimitA+0], s[sgprShadowLimitA+0], s[sgprGlobalReadIncsA+0] // limit -= inc)
v_mfma_f64_16x16x4_f64 v[48+0:55+0], v[vgprValuB_X0_I0+12+0+0:vgprValuB_X0_I0+12+0+0+1], v[vgprG2LA+16+0:vgprG2LA+16+0+1], v[48:55]
/*  mfmaIndex:4  */
_ds_load_b128 v[vgprValuB_X2_I0+12:vgprValuB_X2_I0+12+3], v[vgprLocalReadAddrB] offset:7744 // L -> Reg lro=8 swapByteOffset=0 ti=16 vIdx=3 rIdx=0 oIdx=0 buffer=2 iui=0
/* localReadsVacancy: latencyLeft 1 */
s_subb_u32 s[sgprShadowLimitA+1], s[sgprShadowLimitA+1], 0 // limit -= inc)
s_cmp_eq_u32 s[sgprShadowLimitA+1], 0              // are we within 2^32?
s_cmov_b32 s[sgprSrdA+2], s[sgprShadowLimitA+0]    // Move shadow to real if we are within 2^32
v_mfma_f64_16x16x4_f64 v[56+0:63+0], v[vgprValuB_X0_I0+12+0+0:vgprValuB_X0_I0+12+0+0+1], v[vgprG2LA+18+0:vgprG2LA+18+0+1], v[56:63]
/*  mfmaIndex:5  */
/* localReadsVacancy: latencyLeft 5 */
v_mfma_f64_16x16x4_f64 v[40+0:47+0], v[vgprValuB_X0_I0+8+0+0:vgprValuB_X0_I0+8+0+0+1], v[vgprG2LA+18+0:vgprG2LA+18+0+1], v[40:47]
/*  mfmaIndex:6  */
/* localReadsVacancy: latencyLeft 5 */
	;; [unrolled: 3-line block ×3, first 2 shown]
v_mfma_f64_16x16x4_f64 v[8+0:15+0], v[vgprValuB_X0_I0+0+0+0:vgprValuB_X0_I0+0+0+0+1], v[vgprG2LA+18+0:vgprG2LA+18+0+1], v[8:15]
/* numPrefetchIter=0 */
/* dataAtIterA=-1 numReadsIterA=1 skipReadsIterA=1 readsPerIterA=1 */
/* dataAtIterB=-1 numReadsIterB=1 skipReadsIterB=1 readsPerIterB=4 */


/* iter 1 */

s_waitcnt vmcnt(8)                                 // lgkmcnt=-1 vmcnt=8global read wait for DirectToVgpr

/*  grEndMfmaIndex:4, lwStartMfmaIndex:15, lwEndMfmaIndex:22  */
/*  numMfmaForLR:7, barrierMfmaIndex:24, LocalWritePerMfma:0.165 */
/*  mfmaIndex:8  */
/* localReadsVacancy: latencyLeft 5 */
v_mfma_f64_16x16x4_f64 v[0+0:7+0], v[vgprValuB_X0_I0+0+2+0:vgprValuB_X0_I0+0+2+0+1], v[vgprG2LA+20+0:vgprG2LA+20+0+1], v[0:7]
/*  mfmaIndex:9  */
/* localReadsVacancy: latencyLeft 5 */
v_mfma_f64_16x16x4_f64 v[16+0:23+0], v[vgprValuB_X0_I0+4+2+0:vgprValuB_X0_I0+4+2+0+1], v[vgprG2LA+20+0:vgprG2LA+20+0+1], v[16:23]
	;; [unrolled: 3-line block ×6, first 2 shown]
/*  mfmaIndex:14  */
/* localReadsVacancy: latencyLeft 5 */
/* 1 LDS buffer: read-sync-write */
s_waitcnt lgkmcnt(0)                               // 
s_barrier                                          // 
v_mfma_f64_16x16x4_f64 v[24+0:31+0], v[vgprValuB_X0_I0+4+2+0:vgprValuB_X0_I0+4+2+0+1], v[vgprG2LA+22+0:vgprG2LA+22+0+1], v[24:31]
/*  mfmaIndex:15  */
/* sched write - iter 1 writesPerItem=1 */
s_waitcnt vmcnt(0)                                 // lgkmcnt=-1 vmcnt=0wait for global read before writing to local
_ds_store_b128 v[vgprLocalWriteAddrB], v[vgprG2LB+0:vgprG2LB+0+3] offset:0 // lwoB_0_0_0_0 = (0*LSCB)*(MT1J+PAD) + (0*LSPB) = 0
v_mfma_f64_16x16x4_f64 v[8+0:15+0], v[vgprValuB_X0_I0+0+2+0:vgprValuB_X0_I0+0+2+0+1], v[vgprG2LA+22+0:vgprG2LA+22+0+1], v[8:15]


/* iter 2 (reset local read pointers iteration)  (swap and reset local write pointers iteration)  (swap local read pointers iteration)  */

/*  grEndMfmaIndex:4, lwStartMfmaIndex:15, lwEndMfmaIndex:22  */
/*  numMfmaForLR:7, barrierMfmaIndex:24, LocalWritePerMfma:0.165 */
/*  mfmaIndex:16  */
v_mfma_f64_16x16x4_f64 v[0+0:7+0], v[vgprValuB_X2_I0+0+0+0:vgprValuB_X2_I0+0+0+0+1], v[vgprG2LA+24+0:vgprG2LA+24+0+1], v[0:7]
/*  mfmaIndex:17  */
v_mfma_f64_16x16x4_f64 v[16+0:23+0], v[vgprValuB_X2_I0+4+0+0:vgprValuB_X2_I0+4+0+0+1], v[vgprG2LA+24+0:vgprG2LA+24+0+1], v[16:23]
	;; [unrolled: 2-line block ×5, first 2 shown]
/*  mfmaIndex:21  */
/* sched write - iter 2 writesPerItem=1 */
s_waitcnt vmcnt(0)                                 // lgkmcnt=-1 vmcnt=0wait for global read before writing to local
_ds_store_b128 v[vgprLocalWriteAddrB], v[vgprG2LB+4:vgprG2LB+4+3] offset:5120 // lwoB_0_0_1_0 = (0*LSCB)*(MT1J+PAD) + (1*LSPB) = 5120
v_mfma_f64_16x16x4_f64 v[40+0:47+0], v[vgprValuB_X2_I0+8+0+0:vgprValuB_X2_I0+8+0+0+1], v[vgprG2LA+26+0:vgprG2LA+26+0+1], v[40:47]
/*  mfmaIndex:22  */

/* local write swap offsets a */

/* local write swap offsets b */
v_mfma_f64_16x16x4_f64 v[24+0:31+0], v[vgprValuB_X2_I0+4+0+0:vgprValuB_X2_I0+4+0+0+1], v[vgprG2LA+26+0:vgprG2LA+26+0+1], v[24:31]
/*  mfmaIndex:23  */

/* local read swap offsets a */

/* local read swap offsets b */

/* local read init pointers a */

/* local read init pointers b */

/* localReadInitPointers */
v_mfma_f64_16x16x4_f64 v[8+0:15+0], v[vgprValuB_X2_I0+0+0+0:vgprValuB_X2_I0+0+0+0+1], v[vgprG2LA+26+0:vgprG2LA+26+0+1], v[8:15]


/* iter 3 */

/*  grEndMfmaIndex:4, lwStartMfmaIndex:15, lwEndMfmaIndex:22  */
/*  numMfmaForLR:7, barrierMfmaIndex:24, LocalWritePerMfma:0.165 */
/*  mfmaIndex:24  */
s_waitcnt lgkmcnt(0)                               // lgkmcnt=0 vmcnt=-13wait for local write
// Skip force waitcnt0
s_barrier //
v_mfma_f64_16x16x4_f64 v[0+0:7+0], v[vgprValuB_X2_I0+0+2+0:vgprValuB_X2_I0+0+2+0+1], v[vgprG2LA+28+0:vgprG2LA+28+0+1], v[0:7]
/*  mfmaIndex:25  */
_ds_load_b128 v[vgprValuB_X0_I0+0:vgprValuB_X0_I0+0+3], v[vgprLocalReadAddrB] offset:0 // L -> Reg lro=0 swapByteOffset=0 ti=16 vIdx=0 rIdx=0 oIdx=0 buffer=0 iui=0
v_mfma_f64_16x16x4_f64 v[16+0:23+0], v[vgprValuB_X2_I0+4+2+0:vgprValuB_X2_I0+4+2+0+1], v[vgprG2LA+28+0:vgprG2LA+28+0+1], v[16:23]
/*  mfmaIndex:26  */
_ds_load_b128 v[vgprValuB_X0_I0+4:vgprValuB_X0_I0+4+3], v[vgprLocalReadAddrB] offset:2560 // L -> Reg lro=0 swapByteOffset=0 ti=16 vIdx=1 rIdx=0 oIdx=0 buffer=0 iui=0
	;; [unrolled: 3-line block ×4, first 2 shown]
v_mfma_f64_16x16x4_f64 v[8+0:15+0], v[vgprValuB_X2_I0+0+2+0:vgprValuB_X2_I0+0+2+0+1], v[vgprG2LA+30+0:vgprG2LA+30+0+1], v[8:15]
/*  mfmaIndex:29  */
v_mfma_f64_16x16x4_f64 v[24+0:31+0], v[vgprValuB_X2_I0+4+2+0:vgprValuB_X2_I0+4+2+0+1], v[vgprG2LA+30+0:vgprG2LA+30+0+1], v[24:31]
/*  mfmaIndex:30  */
	;; [unrolled: 2-line block ×3, first 2 shown]
v_mfma_f64_16x16x4_f64 v[56+0:63+0], v[vgprValuB_X2_I0+12+2+0:vgprValuB_X2_I0+12+2+0+1], v[vgprG2LA+30+0:vgprG2LA+30+0+1], v[56:63]

s_branch label_0018                                // Skip even code
label_0017: // EvenStartNoGlobalLoadLoopOrd 


/* iter 0 */

s_waitcnt vmcnt(9)                                 // lgkmcnt=-1 vmcnt=9global read wait for DirectToVgpr

/*  grEndMfmaIndex:4, lwStartMfmaIndex:15, lwEndMfmaIndex:22  */
/*  numMfmaForLR:7, barrierMfmaIndex:24, LocalWritePerMfma:0.165 */
/*  mfmaIndex:0  */
s_waitcnt lgkmcnt(0)                               // lgkmcnt=0 vmcnt=-1wait for prior local read local write old=0, new=0 newLW=0 newLR=0
v_mfma_f64_16x16x4_f64 v[0+0:7+0], v[vgprValuB_X0_I0+0+0+0:vgprValuB_X0_I0+0+0+0+1], v[vgprG2LA+0+0:vgprG2LA+0+0+1], v[0:7]
/*  mfmaIndex:1  */
_ds_load_b128 v[vgprValuB_X2_I0+0:vgprValuB_X2_I0+0+3], v[vgprLocalReadAddrB] offset:64 // L -> Reg lro=8 swapByteOffset=0 ti=16 vIdx=0 rIdx=0 oIdx=0 buffer=2 iui=0

/* global read inc B loopL */
s_add_u32 s[sgprSrdB+0], s[sgprSrdB+0], s[sgprGlobalReadIncsB+0] // gra SRD += inc(lower)
s_addc_u32  s[sgprSrdB+1], s[sgprSrdB+1], 0        // gra SRD += inc(upper)
s_sub_u32 s[sgprShadowLimitB+0], s[sgprShadowLimitB+0], s[sgprGlobalReadIncsB+0] // limit -= inc)
v_mfma_f64_16x16x4_f64 v[16+0:23+0], v[vgprValuB_X0_I0+4+0+0:vgprValuB_X0_I0+4+0+0+1], v[vgprG2LA+0+0:vgprG2LA+0+0+1], v[16:23]
/*  mfmaIndex:2  */
_ds_load_b128 v[vgprValuB_X2_I0+4:vgprValuB_X2_I0+4+3], v[vgprLocalReadAddrB] offset:2624 // L -> Reg lro=8 swapByteOffset=0 ti=16 vIdx=1 rIdx=0 oIdx=0 buffer=2 iui=0
s_subb_u32 s[sgprShadowLimitB+1], s[sgprShadowLimitB+1], 0 // limit -= inc)
s_cmp_eq_u32 s[sgprShadowLimitB+1], 0              // are we within 2^32?
s_cmov_b32 s[sgprSrdB+2], s[sgprShadowLimitB+0]    // Move shadow to real if we are within 2^32
v_mfma_f64_16x16x4_f64 v[32+0:39+0], v[vgprValuB_X0_I0+8+0+0:vgprValuB_X0_I0+8+0+0+1], v[vgprG2LA+0+0:vgprG2LA+0+0+1], v[32:39]
/*  mfmaIndex:3  */
_ds_load_b128 v[vgprValuB_X2_I0+8:vgprValuB_X2_I0+8+3], v[vgprLocalReadAddrB] offset:5184 // L -> Reg lro=8 swapByteOffset=0 ti=16 vIdx=2 rIdx=0 oIdx=0 buffer=2 iui=0

/* global read inc A loopL */
s_add_u32 s[sgprSrdA+0], s[sgprSrdA+0], s[sgprGlobalReadIncsA+0] // gra SRD += inc(lower)
s_addc_u32  s[sgprSrdA+1], s[sgprSrdA+1], 0        // gra SRD += inc(upper)
s_sub_u32 s[sgprShadowLimitA+0], s[sgprShadowLimitA+0], s[sgprGlobalReadIncsA+0] // limit -= inc)
v_mfma_f64_16x16x4_f64 v[48+0:55+0], v[vgprValuB_X0_I0+12+0+0:vgprValuB_X0_I0+12+0+0+1], v[vgprG2LA+0+0:vgprG2LA+0+0+1], v[48:55]
/*  mfmaIndex:4  */
_ds_load_b128 v[vgprValuB_X2_I0+12:vgprValuB_X2_I0+12+3], v[vgprLocalReadAddrB] offset:7744 // L -> Reg lro=8 swapByteOffset=0 ti=16 vIdx=3 rIdx=0 oIdx=0 buffer=2 iui=0
/* localReadsVacancy: latencyLeft 1 */
s_subb_u32 s[sgprShadowLimitA+1], s[sgprShadowLimitA+1], 0 // limit -= inc)
s_cmp_eq_u32 s[sgprShadowLimitA+1], 0              // are we within 2^32?
s_cmov_b32 s[sgprSrdA+2], s[sgprShadowLimitA+0]    // Move shadow to real if we are within 2^32
v_mfma_f64_16x16x4_f64 v[56+0:63+0], v[vgprValuB_X0_I0+12+0+0:vgprValuB_X0_I0+12+0+0+1], v[vgprG2LA+2+0:vgprG2LA+2+0+1], v[56:63]
/*  mfmaIndex:5  */
/* localReadsVacancy: latencyLeft 5 */
v_mfma_f64_16x16x4_f64 v[40+0:47+0], v[vgprValuB_X0_I0+8+0+0:vgprValuB_X0_I0+8+0+0+1], v[vgprG2LA+2+0:vgprG2LA+2+0+1], v[40:47]
/*  mfmaIndex:6  */
/* localReadsVacancy: latencyLeft 5 */
	;; [unrolled: 3-line block ×3, first 2 shown]
v_mfma_f64_16x16x4_f64 v[8+0:15+0], v[vgprValuB_X0_I0+0+0+0:vgprValuB_X0_I0+0+0+0+1], v[vgprG2LA+2+0:vgprG2LA+2+0+1], v[8:15]
/* numPrefetchIter=0 */
/* dataAtIterA=-1 numReadsIterA=1 skipReadsIterA=1 readsPerIterA=1 */
/* dataAtIterB=-1 numReadsIterB=1 skipReadsIterB=1 readsPerIterB=4 */


/* iter 1 */

s_waitcnt vmcnt(8)                                 // lgkmcnt=-1 vmcnt=8global read wait for DirectToVgpr

/*  grEndMfmaIndex:4, lwStartMfmaIndex:15, lwEndMfmaIndex:22  */
/*  numMfmaForLR:7, barrierMfmaIndex:24, LocalWritePerMfma:0.165 */
/*  mfmaIndex:8  */
/* localReadsVacancy: latencyLeft 5 */
v_mfma_f64_16x16x4_f64 v[0+0:7+0], v[vgprValuB_X0_I0+0+2+0:vgprValuB_X0_I0+0+2+0+1], v[vgprG2LA+4+0:vgprG2LA+4+0+1], v[0:7]
/*  mfmaIndex:9  */
/* localReadsVacancy: latencyLeft 5 */
v_mfma_f64_16x16x4_f64 v[16+0:23+0], v[vgprValuB_X0_I0+4+2+0:vgprValuB_X0_I0+4+2+0+1], v[vgprG2LA+4+0:vgprG2LA+4+0+1], v[16:23]
	;; [unrolled: 3-line block ×6, first 2 shown]
/*  mfmaIndex:14  */
/* localReadsVacancy: latencyLeft 5 */
/* 1 LDS buffer: read-sync-write */
s_waitcnt lgkmcnt(0)                               // 
s_barrier                                          // 
v_mfma_f64_16x16x4_f64 v[24+0:31+0], v[vgprValuB_X0_I0+4+2+0:vgprValuB_X0_I0+4+2+0+1], v[vgprG2LA+6+0:vgprG2LA+6+0+1], v[24:31]
/*  mfmaIndex:15  */
/* sched write - iter 1 writesPerItem=1 */
s_waitcnt vmcnt(0)                                 // lgkmcnt=-1 vmcnt=0wait for global read before writing to local
_ds_store_b128 v[vgprLocalWriteAddrB], v[vgprG2LB+0:vgprG2LB+0+3] offset:0 // lwoB_0_0_0_0 = (0*LSCB)*(MT1J+PAD) + (0*LSPB) = 0
v_mfma_f64_16x16x4_f64 v[8+0:15+0], v[vgprValuB_X0_I0+0+2+0:vgprValuB_X0_I0+0+2+0+1], v[vgprG2LA+6+0:vgprG2LA+6+0+1], v[8:15]


/* iter 2 (reset local read pointers iteration)  (swap and reset local write pointers iteration)  (swap local read pointers iteration)  */

/*  grEndMfmaIndex:4, lwStartMfmaIndex:15, lwEndMfmaIndex:22  */
/*  numMfmaForLR:7, barrierMfmaIndex:24, LocalWritePerMfma:0.165 */
/*  mfmaIndex:16  */
v_mfma_f64_16x16x4_f64 v[0+0:7+0], v[vgprValuB_X2_I0+0+0+0:vgprValuB_X2_I0+0+0+0+1], v[vgprG2LA+8+0:vgprG2LA+8+0+1], v[0:7]
/*  mfmaIndex:17  */
v_mfma_f64_16x16x4_f64 v[16+0:23+0], v[vgprValuB_X2_I0+4+0+0:vgprValuB_X2_I0+4+0+0+1], v[vgprG2LA+8+0:vgprG2LA+8+0+1], v[16:23]
	;; [unrolled: 2-line block ×5, first 2 shown]
/*  mfmaIndex:21  */
/* sched write - iter 2 writesPerItem=1 */
s_waitcnt vmcnt(0)                                 // lgkmcnt=-1 vmcnt=0wait for global read before writing to local
_ds_store_b128 v[vgprLocalWriteAddrB], v[vgprG2LB+4:vgprG2LB+4+3] offset:5120 // lwoB_0_0_1_0 = (0*LSCB)*(MT1J+PAD) + (1*LSPB) = 5120
v_mfma_f64_16x16x4_f64 v[40+0:47+0], v[vgprValuB_X2_I0+8+0+0:vgprValuB_X2_I0+8+0+0+1], v[vgprG2LA+10+0:vgprG2LA+10+0+1], v[40:47]
/*  mfmaIndex:22  */

/* local write swap offsets a */

/* local write swap offsets b */
v_mfma_f64_16x16x4_f64 v[24+0:31+0], v[vgprValuB_X2_I0+4+0+0:vgprValuB_X2_I0+4+0+0+1], v[vgprG2LA+10+0:vgprG2LA+10+0+1], v[24:31]
/*  mfmaIndex:23  */

/* local read swap offsets a */

/* local read swap offsets b */

/* local read init pointers a */

/* local read init pointers b */

/* localReadInitPointers */
v_mfma_f64_16x16x4_f64 v[8+0:15+0], v[vgprValuB_X2_I0+0+0+0:vgprValuB_X2_I0+0+0+0+1], v[vgprG2LA+10+0:vgprG2LA+10+0+1], v[8:15]


/* iter 3 */

/*  grEndMfmaIndex:4, lwStartMfmaIndex:15, lwEndMfmaIndex:22  */
/*  numMfmaForLR:7, barrierMfmaIndex:24, LocalWritePerMfma:0.165 */
/*  mfmaIndex:24  */
s_waitcnt lgkmcnt(0)                               // lgkmcnt=0 vmcnt=-13wait for local write
// Skip force waitcnt0
s_barrier //
v_mfma_f64_16x16x4_f64 v[0+0:7+0], v[vgprValuB_X2_I0+0+2+0:vgprValuB_X2_I0+0+2+0+1], v[vgprG2LA+12+0:vgprG2LA+12+0+1], v[0:7]
/*  mfmaIndex:25  */
_ds_load_b128 v[vgprValuB_X0_I0+0:vgprValuB_X0_I0+0+3], v[vgprLocalReadAddrB] offset:0 // L -> Reg lro=0 swapByteOffset=0 ti=16 vIdx=0 rIdx=0 oIdx=0 buffer=0 iui=0
v_mfma_f64_16x16x4_f64 v[16+0:23+0], v[vgprValuB_X2_I0+4+2+0:vgprValuB_X2_I0+4+2+0+1], v[vgprG2LA+12+0:vgprG2LA+12+0+1], v[16:23]
/*  mfmaIndex:26  */
_ds_load_b128 v[vgprValuB_X0_I0+4:vgprValuB_X0_I0+4+3], v[vgprLocalReadAddrB] offset:2560 // L -> Reg lro=0 swapByteOffset=0 ti=16 vIdx=1 rIdx=0 oIdx=0 buffer=0 iui=0
	;; [unrolled: 3-line block ×4, first 2 shown]
v_mfma_f64_16x16x4_f64 v[8+0:15+0], v[vgprValuB_X2_I0+0+2+0:vgprValuB_X2_I0+0+2+0+1], v[vgprG2LA+14+0:vgprG2LA+14+0+1], v[8:15]
/*  mfmaIndex:29  */
v_mfma_f64_16x16x4_f64 v[24+0:31+0], v[vgprValuB_X2_I0+4+2+0:vgprValuB_X2_I0+4+2+0+1], v[vgprG2LA+14+0:vgprG2LA+14+0+1], v[24:31]
/*  mfmaIndex:30  */
	;; [unrolled: 2-line block ×3, first 2 shown]
v_mfma_f64_16x16x4_f64 v[56+0:63+0], v[vgprValuB_X2_I0+12+2+0:vgprValuB_X2_I0+12+2+0+1], v[vgprG2LA+14+0:vgprG2LA+14+0+1], v[56:63]

label_0018: // EvenEndNoGlobalLoadLoopOrd 

label_0014:


/******************************************/
/* Opt. NoLoadLoop Without PAP - Begin                                      */
/******************************************/

s_mov_b32 s32, s[sgprBeta+0]                       // tmp = Beta[0]
s_or_b32 s32, s[sgprBeta+1], s32                   // tmp |= Beta[1] 
s_cmpk_eq_u32 s32, 0x0                             // Beta == 0
s_cbranch_scc0 OptNLL_End_19                       // Branch if Beta is not zero

s_mov_b32 s32, 0                                   // Low part of double 1.0
s_mov_b32 s33, 0x3ff00000                          // High part of double 1.0
s_cmp_eq_u64 s[sgprAlpha:sgprAlpha+1], s[32:33]    // Alpha == 1.0 ?
s_cbranch_scc0 OptNLL_End_19                       // branch if alpha != 1

s_and_b32 s32, 127, s[sgprSizeI]                   // s32 = s[sgprSizeI] % 128
s_add_u32 s33, -0x1, s[sgprNumWorkGroups0]         // 
s_cmp_ge_u32 s[sgprWorkGroup0], s33                // wg0 >= nwg0-1 ?
s_cselect_b32 s32, s32, 0                          // set rMT0
s_cmpk_gt_u32 s32, 0x0                             // rMT0 > 0
s_cbranch_scc1 OptNLL_End_19                       // jump if edges required
s_and_b32 s32, 63, s[sgprSizeJ]                    // s32 = s[sgprSizeJ] % 64
s_add_u32 s33, -0x1, s[sgprNumWorkGroups1]         // 
s_cmp_ge_u32 s[sgprWorkGroup1], s33                // wg1 >= nwg1-1
s_cselect_b32 s32, s32, 0                          // set rMT1
s_cmpk_gt_u32 s32, 0x0                             // rMT1 > 0
s_cbranch_scc1 OptNLL_End_19                       // jump if edges required

s_and_b32 s33, 15, s[sgprSizesSum+0]               // s33 = s[sgprSizesSum+0] % 16
s_cmp_eq_u32 s33, 0x0                              // numIterL == 0
s_cbranch_scc0 OptNLL_End_19                       // skip if tail loop required

s_and_b32 s31, s[sgprOrigLoopCounter], 1           // test if OrigLoopCounter is Odd ?
s_cbranch_scc0 label_0020                          // Skip odd code if OrigLoopCounter is Even


	;; [unrolled: 1-line block ×3, first 2 shown]
/* iter 0 (last unrolled loop) */

s_waitcnt vmcnt(3)                                 // lgkmcnt=-1 vmcnt=3global read wait for DirectToVgpr

/*  grEndMfmaIndex:0, lwStartMfmaIndex:22, lwEndMfmaIndex:22  */
/*  numMfmaForLR:7, barrierMfmaIndex:24, LocalWritePerMfma:0.165 */
/*  mfmaIndex:0  */
s_waitcnt lgkmcnt(0)                               // lgkmcnt=0 vmcnt=-1wait for prior local read local write old=0, new=0 newLW=0 newLR=0
v_mfma_f64_16x16x4_f64 v[0+0:7+0], v[vgprValuB_X0_I0+0+0+0:vgprValuB_X0_I0+0+0+0+1], v[vgprG2LA+0+0:vgprG2LA+0+0+1], v[0:7]
/*  mfmaIndex:1  */
_ds_load_b128 v[vgprValuB_X2_I0+0:vgprValuB_X2_I0+0+3], v[vgprLocalReadAddrB] offset:64 // L -> Reg lro=8 swapByteOffset=0 ti=16 vIdx=0 rIdx=0 oIdx=0 buffer=2 iui=0
v_mfma_f64_16x16x4_f64 v[16+0:23+0], v[vgprValuB_X0_I0+4+0+0:vgprValuB_X0_I0+4+0+0+1], v[vgprG2LA+0+0:vgprG2LA+0+0+1], v[16:23]
/*  mfmaIndex:2  */
_ds_load_b128 v[vgprValuB_X2_I0+4:vgprValuB_X2_I0+4+3], v[vgprLocalReadAddrB] offset:2624 // L -> Reg lro=8 swapByteOffset=0 ti=16 vIdx=1 rIdx=0 oIdx=0 buffer=2 iui=0
v_mfma_f64_16x16x4_f64 v[32+0:39+0], v[vgprValuB_X0_I0+8+0+0:vgprValuB_X0_I0+8+0+0+1], v[vgprG2LA+0+0:vgprG2LA+0+0+1], v[32:39]
/*  mfmaIndex:3  */
_ds_load_b128 v[vgprValuB_X2_I0+8:vgprValuB_X2_I0+8+3], v[vgprLocalReadAddrB] offset:5184 // L -> Reg lro=8 swapByteOffset=0 ti=16 vIdx=2 rIdx=0 oIdx=0 buffer=2 iui=0
v_mfma_f64_16x16x4_f64 v[48+0:55+0], v[vgprValuB_X0_I0+12+0+0:vgprValuB_X0_I0+12+0+0+1], v[vgprG2LA+0+0:vgprG2LA+0+0+1], v[48:55]
/*  mfmaIndex:4  */
_ds_load_b128 v[vgprValuB_X2_I0+12:vgprValuB_X2_I0+12+3], v[vgprLocalReadAddrB] offset:7744 // L -> Reg lro=8 swapByteOffset=0 ti=16 vIdx=3 rIdx=0 oIdx=0 buffer=2 iui=0
/* localReadsVacancy: latencyLeft 1 */
v_mfma_f64_16x16x4_f64 v[56+0:63+0], v[vgprValuB_X0_I0+12+0+0:vgprValuB_X0_I0+12+0+0+1], v[vgprG2LA+2+0:vgprG2LA+2+0+1], v[56:63]
/*  mfmaIndex:5  */
/* localReadsVacancy: latencyLeft 5 */
v_mfma_f64_16x16x4_f64 v[40+0:47+0], v[vgprValuB_X0_I0+8+0+0:vgprValuB_X0_I0+8+0+0+1], v[vgprG2LA+2+0:vgprG2LA+2+0+1], v[40:47]
/*  mfmaIndex:6  */
	;; [unrolled: 3-line block ×3, first 2 shown]
/* localReadsVacancy: latencyLeft 5 */
v_mfma_f64_16x16x4_f64 v[8+0:15+0], v[vgprValuB_X0_I0+0+0+0:vgprValuB_X0_I0+0+0+0+1], v[vgprG2LA+2+0:vgprG2LA+2+0+1], v[8:15]
/* numPrefetchIter=0 */
/* dataAtIterA=-1 numReadsIterA=1 skipReadsIterA=1 readsPerIterA=1 */
/* dataAtIterB=-1 numReadsIterB=1 skipReadsIterB=1 readsPerIterB=4 */


/* iter 1 (last unrolled loop) */

s_waitcnt vmcnt(2)                                 // lgkmcnt=-1 vmcnt=2global read wait for DirectToVgpr

/*  grEndMfmaIndex:0, lwStartMfmaIndex:22, lwEndMfmaIndex:22  */
/*  numMfmaForLR:7, barrierMfmaIndex:24, LocalWritePerMfma:0.165 */
/*  mfmaIndex:8  */
/* localReadsVacancy: latencyLeft 5 */
v_mfma_f64_16x16x4_f64 v[0+0:7+0], v[vgprValuB_X0_I0+0+2+0:vgprValuB_X0_I0+0+2+0+1], v[vgprG2LA+4+0:vgprG2LA+4+0+1], v[0:7]
/*  mfmaIndex:9  */
/* localReadsVacancy: latencyLeft 5 */
v_mfma_f64_16x16x4_f64 v[16+0:23+0], v[vgprValuB_X0_I0+4+2+0:vgprValuB_X0_I0+4+2+0+1], v[vgprG2LA+4+0:vgprG2LA+4+0+1], v[16:23]
	;; [unrolled: 3-line block ×8, first 2 shown]


/* iter 2 (last unrolled loop) */

s_waitcnt vmcnt(1)                                 // lgkmcnt=-1 vmcnt=1global read wait for DirectToVgpr

/*  grEndMfmaIndex:0, lwStartMfmaIndex:22, lwEndMfmaIndex:22  */
/*  numMfmaForLR:7, barrierMfmaIndex:24, LocalWritePerMfma:0.165 */
/*  mfmaIndex:16  */
/* localReadsVacancy: latencyLeft 5 */
s_waitcnt lgkmcnt(0)                               // lgkmcnt=0 vmcnt=-1wait for prior local read local write old=0, new=0 newLW=0 newLR=0
v_mfma_f64_16x16x4_f64 v[0+0:7+0], v[vgprValuB_X2_I0+0+0+0:vgprValuB_X2_I0+0+0+0+1], v[vgprG2LA+8+0:vgprG2LA+8+0+1], v[0:7]
/*  mfmaIndex:17  */
/* localReadsVacancy: latencyLeft 5 */
v_mfma_f64_16x16x4_f64 v[16+0:23+0], v[vgprValuB_X2_I0+4+0+0:vgprValuB_X2_I0+4+0+0+1], v[vgprG2LA+8+0:vgprG2LA+8+0+1], v[16:23]
/*  mfmaIndex:18  */
/* localReadsVacancy: latencyLeft 5 */
v_mfma_f64_16x16x4_f64 v[32+0:39+0], v[vgprValuB_X2_I0+8+0+0:vgprValuB_X2_I0+8+0+0+1], v[vgprG2LA+8+0:vgprG2LA+8+0+1], v[32:39]
/*  mfmaIndex:19  */
/* localReadsVacancy: latencyLeft 5 */
v_mfma_f64_16x16x4_f64 v[48+0:55+0], v[vgprValuB_X2_I0+12+0+0:vgprValuB_X2_I0+12+0+0+1], v[vgprG2LA+8+0:vgprG2LA+8+0+1], v[48:55]
/*  mfmaIndex:20  */
/* localReadsVacancy: latencyLeft 5 */
v_mfma_f64_16x16x4_f64 v[56+0:63+0], v[vgprValuB_X2_I0+12+0+0:vgprValuB_X2_I0+12+0+0+1], v[vgprG2LA+10+0:vgprG2LA+10+0+1], v[56:63]
/*  mfmaIndex:21  */
/* localReadsVacancy: latencyLeft 5 */
/* 1 LDS buffer: read-sync-write */
s_waitcnt lgkmcnt(0)                               // 
s_barrier                                          // 
v_mfma_f64_16x16x4_f64 v[40+0:47+0], v[vgprValuB_X2_I0+8+0+0:vgprValuB_X2_I0+8+0+0+1], v[vgprG2LA+10+0:vgprG2LA+10+0+1], v[40:47]
/*  mfmaIndex:22  */
/* localReadsVacancy: latencyLeft 5 */
v_mfma_f64_16x16x4_f64 v[24+0:31+0], v[vgprValuB_X2_I0+4+0+0:vgprValuB_X2_I0+4+0+0+1], v[vgprG2LA+10+0:vgprG2LA+10+0+1], v[24:31]
/*  mfmaIndex:23  */
v_mfma_f64_16x16x4_f64 v[8+0:15+0], v[vgprValuB_X2_I0+0+0+0:vgprValuB_X2_I0+0+0+0+1], v[vgprG2LA+10+0:vgprG2LA+10+0+1], v[8:15]
/* numPrefetchIter=0 */
/* dataAtIterA=1 numReadsIterA=3 skipReadsIterA=1 readsPerIterA=1 */
/* dataAtIterB=0 numReadsIterB=1 skipReadsIterB=0 readsPerIterB=4 */


/* iter 3 (last unrolled loop) */

s_waitcnt vmcnt(0)                                 // lgkmcnt=-1 vmcnt=0global read wait for DirectToVgpr

/*  grEndMfmaIndex:0, lwStartMfmaIndex:22, lwEndMfmaIndex:22  */
/*  numMfmaForLR:7, barrierMfmaIndex:24, LocalWritePerMfma:0.165 */
/*  mfmaIndex:24  */
v_mfma_f64_16x16x4_f64 v[0+0:7+0], v[vgprValuB_X2_I0+0+2+0:vgprValuB_X2_I0+0+2+0+1], v[vgprG2LA+12+0:vgprG2LA+12+0+1], v[0:7]
/*  mfmaIndex:25  */
v_mfma_f64_16x16x4_f64 v[16+0:23+0], v[vgprValuB_X2_I0+4+2+0:vgprValuB_X2_I0+4+2+0+1], v[vgprG2LA+12+0:vgprG2LA+12+0+1], v[16:23]
	;; [unrolled: 2-line block ×8, first 2 shown]

s_branch label_0021                                // Skip even code
label_0020: // EvenStartNoLoadLoopOpt 


	;; [unrolled: 1-line block ×3, first 2 shown]
/* iter 0 (last unrolled loop) */

s_waitcnt vmcnt(3)                                 // lgkmcnt=-1 vmcnt=3global read wait for DirectToVgpr

/*  grEndMfmaIndex:0, lwStartMfmaIndex:22, lwEndMfmaIndex:22  */
/*  numMfmaForLR:7, barrierMfmaIndex:24, LocalWritePerMfma:0.165 */
/*  mfmaIndex:0  */
s_waitcnt lgkmcnt(0)                               // lgkmcnt=0 vmcnt=-1wait for prior local read local write old=0, new=0 newLW=0 newLR=0
v_mfma_f64_16x16x4_f64 v[0+0:7+0], v[vgprValuB_X0_I0+0+0+0:vgprValuB_X0_I0+0+0+0+1], v[vgprG2LA+16+0:vgprG2LA+16+0+1], v[0:7]
/*  mfmaIndex:1  */
_ds_load_b128 v[vgprValuB_X2_I0+0:vgprValuB_X2_I0+0+3], v[vgprLocalReadAddrB] offset:64 // L -> Reg lro=8 swapByteOffset=0 ti=16 vIdx=0 rIdx=0 oIdx=0 buffer=2 iui=0
v_mfma_f64_16x16x4_f64 v[16+0:23+0], v[vgprValuB_X0_I0+4+0+0:vgprValuB_X0_I0+4+0+0+1], v[vgprG2LA+16+0:vgprG2LA+16+0+1], v[16:23]
/*  mfmaIndex:2  */
_ds_load_b128 v[vgprValuB_X2_I0+4:vgprValuB_X2_I0+4+3], v[vgprLocalReadAddrB] offset:2624 // L -> Reg lro=8 swapByteOffset=0 ti=16 vIdx=1 rIdx=0 oIdx=0 buffer=2 iui=0
	;; [unrolled: 3-line block ×4, first 2 shown]
/* localReadsVacancy: latencyLeft 1 */
v_mfma_f64_16x16x4_f64 v[56+0:63+0], v[vgprValuB_X0_I0+12+0+0:vgprValuB_X0_I0+12+0+0+1], v[vgprG2LA+18+0:vgprG2LA+18+0+1], v[56:63]
/*  mfmaIndex:5  */
/* localReadsVacancy: latencyLeft 5 */
v_mfma_f64_16x16x4_f64 v[40+0:47+0], v[vgprValuB_X0_I0+8+0+0:vgprValuB_X0_I0+8+0+0+1], v[vgprG2LA+18+0:vgprG2LA+18+0+1], v[40:47]
/*  mfmaIndex:6  */
	;; [unrolled: 3-line block ×3, first 2 shown]
/* localReadsVacancy: latencyLeft 5 */
v_mfma_f64_16x16x4_f64 v[8+0:15+0], v[vgprValuB_X0_I0+0+0+0:vgprValuB_X0_I0+0+0+0+1], v[vgprG2LA+18+0:vgprG2LA+18+0+1], v[8:15]
/* numPrefetchIter=0 */
/* dataAtIterA=-1 numReadsIterA=1 skipReadsIterA=1 readsPerIterA=1 */
/* dataAtIterB=-1 numReadsIterB=1 skipReadsIterB=1 readsPerIterB=4 */


/* iter 1 (last unrolled loop) */

s_waitcnt vmcnt(2)                                 // lgkmcnt=-1 vmcnt=2global read wait for DirectToVgpr

/*  grEndMfmaIndex:0, lwStartMfmaIndex:22, lwEndMfmaIndex:22  */
/*  numMfmaForLR:7, barrierMfmaIndex:24, LocalWritePerMfma:0.165 */
/*  mfmaIndex:8  */
/* localReadsVacancy: latencyLeft 5 */
v_mfma_f64_16x16x4_f64 v[0+0:7+0], v[vgprValuB_X0_I0+0+2+0:vgprValuB_X0_I0+0+2+0+1], v[vgprG2LA+20+0:vgprG2LA+20+0+1], v[0:7]
/*  mfmaIndex:9  */
/* localReadsVacancy: latencyLeft 5 */
v_mfma_f64_16x16x4_f64 v[16+0:23+0], v[vgprValuB_X0_I0+4+2+0:vgprValuB_X0_I0+4+2+0+1], v[vgprG2LA+20+0:vgprG2LA+20+0+1], v[16:23]
	;; [unrolled: 3-line block ×8, first 2 shown]


/* iter 2 (last unrolled loop) */

s_waitcnt vmcnt(1)                                 // lgkmcnt=-1 vmcnt=1global read wait for DirectToVgpr

/*  grEndMfmaIndex:0, lwStartMfmaIndex:22, lwEndMfmaIndex:22  */
/*  numMfmaForLR:7, barrierMfmaIndex:24, LocalWritePerMfma:0.165 */
/*  mfmaIndex:16  */
/* localReadsVacancy: latencyLeft 5 */
s_waitcnt lgkmcnt(0)                               // lgkmcnt=0 vmcnt=-1wait for prior local read local write old=0, new=0 newLW=0 newLR=0
v_mfma_f64_16x16x4_f64 v[0+0:7+0], v[vgprValuB_X2_I0+0+0+0:vgprValuB_X2_I0+0+0+0+1], v[vgprG2LA+24+0:vgprG2LA+24+0+1], v[0:7]
/*  mfmaIndex:17  */
/* localReadsVacancy: latencyLeft 5 */
v_mfma_f64_16x16x4_f64 v[16+0:23+0], v[vgprValuB_X2_I0+4+0+0:vgprValuB_X2_I0+4+0+0+1], v[vgprG2LA+24+0:vgprG2LA+24+0+1], v[16:23]
/*  mfmaIndex:18  */
/* localReadsVacancy: latencyLeft 5 */
	;; [unrolled: 3-line block ×5, first 2 shown]
/* 1 LDS buffer: read-sync-write */
s_waitcnt lgkmcnt(0)                               // 
s_barrier                                          // 
v_mfma_f64_16x16x4_f64 v[40+0:47+0], v[vgprValuB_X2_I0+8+0+0:vgprValuB_X2_I0+8+0+0+1], v[vgprG2LA+26+0:vgprG2LA+26+0+1], v[40:47]
/*  mfmaIndex:22  */
/* localReadsVacancy: latencyLeft 5 */
v_mfma_f64_16x16x4_f64 v[24+0:31+0], v[vgprValuB_X2_I0+4+0+0:vgprValuB_X2_I0+4+0+0+1], v[vgprG2LA+26+0:vgprG2LA+26+0+1], v[24:31]
/*  mfmaIndex:23  */
v_mfma_f64_16x16x4_f64 v[8+0:15+0], v[vgprValuB_X2_I0+0+0+0:vgprValuB_X2_I0+0+0+0+1], v[vgprG2LA+26+0:vgprG2LA+26+0+1], v[8:15]
/* numPrefetchIter=0 */
/* dataAtIterA=1 numReadsIterA=3 skipReadsIterA=1 readsPerIterA=1 */
/* dataAtIterB=0 numReadsIterB=1 skipReadsIterB=0 readsPerIterB=4 */


/* iter 3 (last unrolled loop) */

s_waitcnt vmcnt(0)                                 // lgkmcnt=-1 vmcnt=0global read wait for DirectToVgpr

/*  grEndMfmaIndex:0, lwStartMfmaIndex:22, lwEndMfmaIndex:22  */
/*  numMfmaForLR:7, barrierMfmaIndex:24, LocalWritePerMfma:0.165 */
/*  mfmaIndex:24  */
v_mfma_f64_16x16x4_f64 v[0+0:7+0], v[vgprValuB_X2_I0+0+2+0:vgprValuB_X2_I0+0+2+0+1], v[vgprG2LA+28+0:vgprG2LA+28+0+1], v[0:7]
/*  mfmaIndex:25  */
v_mfma_f64_16x16x4_f64 v[16+0:23+0], v[vgprValuB_X2_I0+4+2+0:vgprValuB_X2_I0+4+2+0+1], v[vgprG2LA+28+0:vgprG2LA+28+0+1], v[16:23]
	;; [unrolled: 2-line block ×8, first 2 shown]

label_0021: // EvenEndNoLoadLoopOpt 

/* Stores for OptNLL */
Summation_End_OptNLL_22:
/* endSummation: add vgpr [64...144) to pool */

/* Mapping of Acc register -> C Vgpr register */

/* Multiply MI out register with Alpha -> C Vgpr register */
/* computeStoreVgprs */
v_lshrrev_b32 v68, 6, v[vgprSerial]                // v68 = v[vgprSerial] / 64
v_and_b32 v65, 63, v[vgprSerial]                   // v65 = v[vgprSerial] % 64
v_lshrrev_b32 v65, 4, v65                          // v65 = v65 / 16
                                                   // thread0 * continuous_output (multiplier is 1, do nothing)
v_lshrrev_b32 v69, 2, v68                          // v69 = v68 / 4
v_mul_lo_u32 v69, 0x10, v69                        // wave coordination offset 1
_v_add_lshl_u32 v65, v69, v65, 0                   // coordination 1 = vwb *(wave_id1 + tid1)
v_mul_lo_u32 v66, v65, s[sgprStrideC1J]            //  offset 1
v_mul_lo_u32 v67, v65, s[sgprStrideD1J]            //  offset 1
v_and_b32 v69, 3, v68                              // v69 = v68 % 4
v_mul_lo_u32 v69, 0x10, v69                        // wave coordination offset 0
v_and_b32 v64, 15, v[vgprSerial]                   // v64 = v[vgprSerial] % 16
_v_add_lshl_u32 v64, v69, v64, 1                   // coordination 0 = vwa *(wave_id0 + tid0)
s_mul_i32 s31, 128, s[sgprWorkGroup0]              // wgp0 * MT0
_v_add_u32 v64, s31, v64                           // coord 0 = (tid0/MI_m)*4 + waveG0*MIB_m + MT0*SG0
s_mul_i32 s31, 64, s[sgprWorkGroup1]               // wgp1 * MT1
_v_add_u32 v65, s31, v65                           // coord 1 = (tid0%MI_m) + waveG1*MIB_n + MT1*SG1
GW_B0_E0_25:

/* edge=0, allocate 2 sgpr. perBatchTmpS=2 perBatchMaskS=0 perElementMaskS=0 elementsPerBatch=4 */
/* optSingleColVgpr=1 optSharedColVgpr=0 optSGPRUsage=BufferLoad_Mask optSrdIncForRow=1 */

/******************************************/
/* Global Write Batch #0 (d1,d0,vc1,vc0) = */
/*    (0,0,0,0:vw2); (1,0,0,0:vw2); (2,0,0,0:vw2); (3,0,0,0:vw2) */
/******************************************/

/* calc coords, apply mask, and issue loads (if necessary) */
/* (d1,vc1,d0,vc0)=(0,0,0,0) */
/* (d1,vc1,d0,vc0)=(1,0,0,0) */
	;; [unrolled: 1-line block ×4, first 2 shown]
_v_add_lshl_u32 v70, v67, v64, 0x3                 // optSingleColVgpr scaleToBpe: sharedAddrVgpr <- cinRowPtr + coord0, scaled by BPE. BSHERE:coord0=64, coord0Vgpr=64
v_mov_b32 v[vgprValuC+72], v[vgprValuC+0] // copy MI out reg to vreg[0]
v_mov_b32 v[vgprValuC+73], v[vgprValuC+1] // copy MI out reg to vreg[1]
	;; [unrolled: 1-line block ×16, first 2 shown]

/* apply mask, calc new C and issue writes */
_buffer_store_b128 v[72:75], v70, s[sgprSrdD:sgprSrdD+3], 0, offen, offset:0,  sc0 sc1 // store D
s_mul_i32 s32, s[sgprStrideD1J], 32                // scale StrideD *= numRows(4) * bpe
s_add_u32  s[sgprSrdD+0], s[sgprSrdD+0], s32       // incToNextRow: gra SRD += inc(lower)
s_addc_u32  s[sgprSrdD+1], s[sgprSrdD+1], 0        // incToNextRow: gra SRD += inc(upper)
_buffer_store_b128 v[76:79], v70, s[sgprSrdD:sgprSrdD+3], 0, offen, offset:0,  sc0 sc1 // store D
s_mul_i32 s32, s[sgprStrideD1J], 32                // scale StrideD *= numRows(4) * bpe
s_add_u32  s[sgprSrdD+0], s[sgprSrdD+0], s32       // incToNextRow: gra SRD += inc(lower)
s_addc_u32  s[sgprSrdD+1], s[sgprSrdD+1], 0        // incToNextRow: gra SRD += inc(upper)
_buffer_store_b128 v[80:83], v70, s[sgprSrdD:sgprSrdD+3], 0, offen, offset:0,  sc0 sc1 // store D
s_mul_i32 s32, s[sgprStrideD1J], 32                // scale StrideD *= numRows(4) * bpe
s_add_u32  s[sgprSrdD+0], s[sgprSrdD+0], s32       // incToNextRow: gra SRD += inc(lower)
s_addc_u32  s[sgprSrdD+1], s[sgprSrdD+1], 0        // incToNextRow: gra SRD += inc(upper)
_buffer_store_b128 v[84:87], v70, s[sgprSrdD:sgprSrdD+3], 0, offen, offset:0,  sc0 sc1 // store D
s_nop 0                                            // 1 wait state required when next inst writes vgprs held by previous dwordx4 store inst
/* optSingleColVgpr=1 optSharedColVgpr=0 optSGPRUsage=BufferLoad_Mask optSrdIncForRow=1 */

/******************************************/
/* Global Write Batch #1 (d1,d0,vc1,vc0) = */
/*    (4,0,0,0:vw2); (5,0,0,0:vw2); (6,0,0,0:vw2); (7,0,0,0:vw2) */
/******************************************/

/* calc coords, apply mask, and issue loads (if necessary) */
/* (d1,vc1,d0,vc0)=(4,0,0,0) */
/* (d1,vc1,d0,vc0)=(5,0,0,0) */
/* (d1,vc1,d0,vc0)=(6,0,0,0) */
/* (d1,vc1,d0,vc0)=(7,0,0,0) */
v_mov_b32 v[vgprValuC+72], v[vgprValuC+16] // copy MI out reg to vreg[16]
v_mov_b32 v[vgprValuC+73], v[vgprValuC+17] // copy MI out reg to vreg[17]
v_mov_b32 v[vgprValuC+74], v[vgprValuC+24] // copy MI out reg to vreg[18]
v_mov_b32 v[vgprValuC+75], v[vgprValuC+25] // copy MI out reg to vreg[19]
v_mov_b32 v[vgprValuC+76], v[vgprValuC+18] // copy MI out reg to vreg[20]
v_mov_b32 v[vgprValuC+77], v[vgprValuC+19] // copy MI out reg to vreg[21]
v_mov_b32 v[vgprValuC+78], v[vgprValuC+26] // copy MI out reg to vreg[22]
v_mov_b32 v[vgprValuC+79], v[vgprValuC+27] // copy MI out reg to vreg[23]
v_mov_b32 v[vgprValuC+80], v[vgprValuC+20] // copy MI out reg to vreg[24]
v_mov_b32 v[vgprValuC+81], v[vgprValuC+21] // copy MI out reg to vreg[25]
v_mov_b32 v[vgprValuC+82], v[vgprValuC+28] // copy MI out reg to vreg[26]
v_mov_b32 v[vgprValuC+83], v[vgprValuC+29] // copy MI out reg to vreg[27]
v_mov_b32 v[vgprValuC+84], v[vgprValuC+22] // copy MI out reg to vreg[28]
v_mov_b32 v[vgprValuC+85], v[vgprValuC+23] // copy MI out reg to vreg[29]
v_mov_b32 v[vgprValuC+86], v[vgprValuC+30] // copy MI out reg to vreg[30]
v_mov_b32 v[vgprValuC+87], v[vgprValuC+31] // copy MI out reg to vreg[31]

/* apply mask, calc new C and issue writes */
s_mul_i32 s32, s[sgprStrideD1J], 32                // scale StrideD *= numRows(4) * bpe
s_add_u32  s[sgprSrdD+0], s[sgprSrdD+0], s32       // incToNextRow: gra SRD += inc(lower)
s_addc_u32  s[sgprSrdD+1], s[sgprSrdD+1], 0        // incToNextRow: gra SRD += inc(upper)
_buffer_store_b128 v[72:75], v70, s[sgprSrdD:sgprSrdD+3], 0, offen, offset:0,  sc0 sc1 // store D
s_mul_i32 s32, s[sgprStrideD1J], 32                // scale StrideD *= numRows(4) * bpe
s_add_u32  s[sgprSrdD+0], s[sgprSrdD+0], s32       // incToNextRow: gra SRD += inc(lower)
s_addc_u32  s[sgprSrdD+1], s[sgprSrdD+1], 0        // incToNextRow: gra SRD += inc(upper)
_buffer_store_b128 v[76:79], v70, s[sgprSrdD:sgprSrdD+3], 0, offen, offset:0,  sc0 sc1 // store D
s_mul_i32 s32, s[sgprStrideD1J], 32                // scale StrideD *= numRows(4) * bpe
s_add_u32  s[sgprSrdD+0], s[sgprSrdD+0], s32       // incToNextRow: gra SRD += inc(lower)
s_addc_u32  s[sgprSrdD+1], s[sgprSrdD+1], 0        // incToNextRow: gra SRD += inc(upper)
_buffer_store_b128 v[80:83], v70, s[sgprSrdD:sgprSrdD+3], 0, offen, offset:0,  sc0 sc1 // store D
s_mul_i32 s32, s[sgprStrideD1J], 32                // scale StrideD *= numRows(4) * bpe
s_add_u32  s[sgprSrdD+0], s[sgprSrdD+0], s32       // incToNextRow: gra SRD += inc(lower)
s_addc_u32  s[sgprSrdD+1], s[sgprSrdD+1], 0        // incToNextRow: gra SRD += inc(upper)
_buffer_store_b128 v[84:87], v70, s[sgprSrdD:sgprSrdD+3], 0, offen, offset:0,  sc0 sc1 // store D
s_nop 0                                            // 1 wait state required when next inst writes vgprs held by previous dwordx4 store inst
/* optSingleColVgpr=1 optSharedColVgpr=0 optSGPRUsage=BufferLoad_Mask optSrdIncForRow=1 */

/******************************************/
/* Global Write Batch #2 (d1,d0,vc1,vc0) = */
/*    (8,0,0,0:vw2); (9,0,0,0:vw2); (10,0,0,0:vw2); (11,0,0,0:vw2) */
/******************************************/

/* calc coords, apply mask, and issue loads (if necessary) */
/* (d1,vc1,d0,vc0)=(8,0,0,0) */
/* (d1,vc1,d0,vc0)=(9,0,0,0) */
/* (d1,vc1,d0,vc0)=(10,0,0,0) */
/* (d1,vc1,d0,vc0)=(11,0,0,0) */
v_mov_b32 v[vgprValuC+72], v[vgprValuC+32] // copy MI out reg to vreg[32]
v_mov_b32 v[vgprValuC+73], v[vgprValuC+33] // copy MI out reg to vreg[33]
v_mov_b32 v[vgprValuC+74], v[vgprValuC+40] // copy MI out reg to vreg[34]
v_mov_b32 v[vgprValuC+75], v[vgprValuC+41] // copy MI out reg to vreg[35]
v_mov_b32 v[vgprValuC+76], v[vgprValuC+34] // copy MI out reg to vreg[36]
v_mov_b32 v[vgprValuC+77], v[vgprValuC+35] // copy MI out reg to vreg[37]
v_mov_b32 v[vgprValuC+78], v[vgprValuC+42] // copy MI out reg to vreg[38]
v_mov_b32 v[vgprValuC+79], v[vgprValuC+43] // copy MI out reg to vreg[39]
v_mov_b32 v[vgprValuC+80], v[vgprValuC+36] // copy MI out reg to vreg[40]
v_mov_b32 v[vgprValuC+81], v[vgprValuC+37] // copy MI out reg to vreg[41]
v_mov_b32 v[vgprValuC+82], v[vgprValuC+44] // copy MI out reg to vreg[42]
v_mov_b32 v[vgprValuC+83], v[vgprValuC+45] // copy MI out reg to vreg[43]
v_mov_b32 v[vgprValuC+84], v[vgprValuC+38] // copy MI out reg to vreg[44]
v_mov_b32 v[vgprValuC+85], v[vgprValuC+39] // copy MI out reg to vreg[45]
v_mov_b32 v[vgprValuC+86], v[vgprValuC+46] // copy MI out reg to vreg[46]
v_mov_b32 v[vgprValuC+87], v[vgprValuC+47] // copy MI out reg to vreg[47]

/* apply mask, calc new C and issue writes */
s_mul_i32 s32, s[sgprStrideD1J], 32                // scale StrideD *= numRows(4) * bpe
s_add_u32  s[sgprSrdD+0], s[sgprSrdD+0], s32       // incToNextRow: gra SRD += inc(lower)
s_addc_u32  s[sgprSrdD+1], s[sgprSrdD+1], 0        // incToNextRow: gra SRD += inc(upper)
	;; [unrolled: 47-line block ×3, first 2 shown]
_buffer_store_b128 v[72:75], v70, s[sgprSrdD:sgprSrdD+3], 0, offen, offset:0,  sc0 sc1 // store D
s_mul_i32 s32, s[sgprStrideD1J], 32                // scale StrideD *= numRows(4) * bpe
s_add_u32  s[sgprSrdD+0], s[sgprSrdD+0], s32       // incToNextRow: gra SRD += inc(lower)
s_addc_u32  s[sgprSrdD+1], s[sgprSrdD+1], 0        // incToNextRow: gra SRD += inc(upper)
_buffer_store_b128 v[76:79], v70, s[sgprSrdD:sgprSrdD+3], 0, offen, offset:0,  sc0 sc1 // store D
s_mul_i32 s32, s[sgprStrideD1J], 32                // scale StrideD *= numRows(4) * bpe
s_add_u32  s[sgprSrdD+0], s[sgprSrdD+0], s32       // incToNextRow: gra SRD += inc(lower)
s_addc_u32  s[sgprSrdD+1], s[sgprSrdD+1], 0        // incToNextRow: gra SRD += inc(upper)
	;; [unrolled: 4-line block ×3, first 2 shown]
_buffer_store_b128 v[84:87], v70, s[sgprSrdD:sgprSrdD+3], 0, offen, offset:0,  sc0 sc1 // store D
s_nop 0                                            // 1 wait state required when next inst writes vgprs held by previous dwordx4 store inst
s_branch label_GW_End_27                           // jump to end
label_GW_End_27:

s_endpgm                                           // Kernel End
OptNLL_End_19:


/******************************************/
/* Ord. NoLoadLoop - Begin                                      */
/******************************************/


s_and_b32 s31, s[sgprOrigLoopCounter], 1           // test if OrigLoopCounter is Odd ?
s_cbranch_scc0 label_0032                          // Skip odd code if OrigLoopCounter is Even



/* iter 0 (last unrolled loop) */

s_waitcnt vmcnt(3)                                 // lgkmcnt=-1 vmcnt=3global read wait for DirectToVgpr

/*  grEndMfmaIndex:0, lwStartMfmaIndex:22, lwEndMfmaIndex:22  */
/*  numMfmaForLR:7, barrierMfmaIndex:24, LocalWritePerMfma:0.165 */
/*  mfmaIndex:0  */
s_waitcnt lgkmcnt(0)                               // lgkmcnt=0 vmcnt=-1wait for prior local read local write old=0, new=0 newLW=0 newLR=0
v_mfma_f64_16x16x4_f64 v[0+0:7+0], v[vgprValuB_X0_I0+0+0+0:vgprValuB_X0_I0+0+0+0+1], v[vgprG2LA+0+0:vgprG2LA+0+0+1], v[0:7]
/*  mfmaIndex:1  */
_ds_load_b128 v[vgprValuB_X2_I0+0:vgprValuB_X2_I0+0+3], v[vgprLocalReadAddrB] offset:64 // L -> Reg lro=8 swapByteOffset=0 ti=16 vIdx=0 rIdx=0 oIdx=0 buffer=2 iui=0
v_mfma_f64_16x16x4_f64 v[16+0:23+0], v[vgprValuB_X0_I0+4+0+0:vgprValuB_X0_I0+4+0+0+1], v[vgprG2LA+0+0:vgprG2LA+0+0+1], v[16:23]
/*  mfmaIndex:2  */
_ds_load_b128 v[vgprValuB_X2_I0+4:vgprValuB_X2_I0+4+3], v[vgprLocalReadAddrB] offset:2624 // L -> Reg lro=8 swapByteOffset=0 ti=16 vIdx=1 rIdx=0 oIdx=0 buffer=2 iui=0
	;; [unrolled: 3-line block ×4, first 2 shown]
/* localReadsVacancy: latencyLeft 1 */
v_mfma_f64_16x16x4_f64 v[56+0:63+0], v[vgprValuB_X0_I0+12+0+0:vgprValuB_X0_I0+12+0+0+1], v[vgprG2LA+2+0:vgprG2LA+2+0+1], v[56:63]
/*  mfmaIndex:5  */
/* localReadsVacancy: latencyLeft 5 */
v_mfma_f64_16x16x4_f64 v[40+0:47+0], v[vgprValuB_X0_I0+8+0+0:vgprValuB_X0_I0+8+0+0+1], v[vgprG2LA+2+0:vgprG2LA+2+0+1], v[40:47]
/*  mfmaIndex:6  */
	;; [unrolled: 3-line block ×3, first 2 shown]
/* localReadsVacancy: latencyLeft 5 */
v_mfma_f64_16x16x4_f64 v[8+0:15+0], v[vgprValuB_X0_I0+0+0+0:vgprValuB_X0_I0+0+0+0+1], v[vgprG2LA+2+0:vgprG2LA+2+0+1], v[8:15]
/* numPrefetchIter=0 */
/* dataAtIterA=-1 numReadsIterA=1 skipReadsIterA=1 readsPerIterA=1 */
/* dataAtIterB=-1 numReadsIterB=1 skipReadsIterB=1 readsPerIterB=4 */


/* iter 1 (last unrolled loop) */

s_waitcnt vmcnt(2)                                 // lgkmcnt=-1 vmcnt=2global read wait for DirectToVgpr

/*  grEndMfmaIndex:0, lwStartMfmaIndex:22, lwEndMfmaIndex:22  */
/*  numMfmaForLR:7, barrierMfmaIndex:24, LocalWritePerMfma:0.165 */
/*  mfmaIndex:8  */
/* localReadsVacancy: latencyLeft 5 */
v_mfma_f64_16x16x4_f64 v[0+0:7+0], v[vgprValuB_X0_I0+0+2+0:vgprValuB_X0_I0+0+2+0+1], v[vgprG2LA+4+0:vgprG2LA+4+0+1], v[0:7]
/*  mfmaIndex:9  */
/* localReadsVacancy: latencyLeft 5 */
v_mfma_f64_16x16x4_f64 v[16+0:23+0], v[vgprValuB_X0_I0+4+2+0:vgprValuB_X0_I0+4+2+0+1], v[vgprG2LA+4+0:vgprG2LA+4+0+1], v[16:23]
/*  mfmaIndex:10  */
/* localReadsVacancy: latencyLeft 5 */
v_mfma_f64_16x16x4_f64 v[32+0:39+0], v[vgprValuB_X0_I0+8+2+0:vgprValuB_X0_I0+8+2+0+1], v[vgprG2LA+4+0:vgprG2LA+4+0+1], v[32:39]
/*  mfmaIndex:11  */
/* localReadsVacancy: latencyLeft 5 */
v_mfma_f64_16x16x4_f64 v[48+0:55+0], v[vgprValuB_X0_I0+12+2+0:vgprValuB_X0_I0+12+2+0+1], v[vgprG2LA+4+0:vgprG2LA+4+0+1], v[48:55]
/*  mfmaIndex:12  */
/* localReadsVacancy: latencyLeft 5 */
v_mfma_f64_16x16x4_f64 v[56+0:63+0], v[vgprValuB_X0_I0+12+2+0:vgprValuB_X0_I0+12+2+0+1], v[vgprG2LA+6+0:vgprG2LA+6+0+1], v[56:63]
/*  mfmaIndex:13  */
/* localReadsVacancy: latencyLeft 5 */
v_mfma_f64_16x16x4_f64 v[40+0:47+0], v[vgprValuB_X0_I0+8+2+0:vgprValuB_X0_I0+8+2+0+1], v[vgprG2LA+6+0:vgprG2LA+6+0+1], v[40:47]
/*  mfmaIndex:14  */
/* localReadsVacancy: latencyLeft 5 */
v_mfma_f64_16x16x4_f64 v[24+0:31+0], v[vgprValuB_X0_I0+4+2+0:vgprValuB_X0_I0+4+2+0+1], v[vgprG2LA+6+0:vgprG2LA+6+0+1], v[24:31]
/*  mfmaIndex:15  */
/* localReadsVacancy: latencyLeft 5 */
v_mfma_f64_16x16x4_f64 v[8+0:15+0], v[vgprValuB_X0_I0+0+2+0:vgprValuB_X0_I0+0+2+0+1], v[vgprG2LA+6+0:vgprG2LA+6+0+1], v[8:15]


/* iter 2 (last unrolled loop) */

s_waitcnt vmcnt(1)                                 // lgkmcnt=-1 vmcnt=1global read wait for DirectToVgpr

/*  grEndMfmaIndex:0, lwStartMfmaIndex:22, lwEndMfmaIndex:22  */
/*  numMfmaForLR:7, barrierMfmaIndex:24, LocalWritePerMfma:0.165 */
/*  mfmaIndex:16  */
/* localReadsVacancy: latencyLeft 5 */
s_waitcnt lgkmcnt(0)                               // lgkmcnt=0 vmcnt=-1wait for prior local read local write old=0, new=0 newLW=0 newLR=0
v_mfma_f64_16x16x4_f64 v[0+0:7+0], v[vgprValuB_X2_I0+0+0+0:vgprValuB_X2_I0+0+0+0+1], v[vgprG2LA+8+0:vgprG2LA+8+0+1], v[0:7]
/*  mfmaIndex:17  */
/* localReadsVacancy: latencyLeft 5 */
v_mfma_f64_16x16x4_f64 v[16+0:23+0], v[vgprValuB_X2_I0+4+0+0:vgprValuB_X2_I0+4+0+0+1], v[vgprG2LA+8+0:vgprG2LA+8+0+1], v[16:23]
/*  mfmaIndex:18  */
/* localReadsVacancy: latencyLeft 5 */
	;; [unrolled: 3-line block ×5, first 2 shown]
/* 1 LDS buffer: read-sync-write */
s_waitcnt lgkmcnt(0)                               // 
s_barrier                                          // 
v_mfma_f64_16x16x4_f64 v[40+0:47+0], v[vgprValuB_X2_I0+8+0+0:vgprValuB_X2_I0+8+0+0+1], v[vgprG2LA+10+0:vgprG2LA+10+0+1], v[40:47]
/*  mfmaIndex:22  */
/* localReadsVacancy: latencyLeft 5 */
v_mfma_f64_16x16x4_f64 v[24+0:31+0], v[vgprValuB_X2_I0+4+0+0:vgprValuB_X2_I0+4+0+0+1], v[vgprG2LA+10+0:vgprG2LA+10+0+1], v[24:31]
/*  mfmaIndex:23  */
v_mfma_f64_16x16x4_f64 v[8+0:15+0], v[vgprValuB_X2_I0+0+0+0:vgprValuB_X2_I0+0+0+0+1], v[vgprG2LA+10+0:vgprG2LA+10+0+1], v[8:15]
/* numPrefetchIter=0 */
/* dataAtIterA=1 numReadsIterA=3 skipReadsIterA=1 readsPerIterA=1 */
/* dataAtIterB=0 numReadsIterB=1 skipReadsIterB=0 readsPerIterB=4 */


/* iter 3 (last unrolled loop) */

s_waitcnt vmcnt(0)                                 // lgkmcnt=-1 vmcnt=0global read wait for DirectToVgpr

/*  grEndMfmaIndex:0, lwStartMfmaIndex:22, lwEndMfmaIndex:22  */
/*  numMfmaForLR:7, barrierMfmaIndex:24, LocalWritePerMfma:0.165 */
/*  mfmaIndex:24  */
v_mfma_f64_16x16x4_f64 v[0+0:7+0], v[vgprValuB_X2_I0+0+2+0:vgprValuB_X2_I0+0+2+0+1], v[vgprG2LA+12+0:vgprG2LA+12+0+1], v[0:7]
/*  mfmaIndex:25  */
v_mfma_f64_16x16x4_f64 v[16+0:23+0], v[vgprValuB_X2_I0+4+2+0:vgprValuB_X2_I0+4+2+0+1], v[vgprG2LA+12+0:vgprG2LA+12+0+1], v[16:23]
	;; [unrolled: 2-line block ×8, first 2 shown]

s_branch label_0033                                // Skip even code
label_0032: // EvenStartNoLoadLoopOrd 


	;; [unrolled: 1-line block ×3, first 2 shown]
/* iter 0 (last unrolled loop) */

s_waitcnt vmcnt(3)                                 // lgkmcnt=-1 vmcnt=3global read wait for DirectToVgpr

/*  grEndMfmaIndex:0, lwStartMfmaIndex:22, lwEndMfmaIndex:22  */
/*  numMfmaForLR:7, barrierMfmaIndex:24, LocalWritePerMfma:0.165 */
/*  mfmaIndex:0  */
s_waitcnt lgkmcnt(0)                               // lgkmcnt=0 vmcnt=-1wait for prior local read local write old=0, new=0 newLW=0 newLR=0
v_mfma_f64_16x16x4_f64 v[0+0:7+0], v[vgprValuB_X0_I0+0+0+0:vgprValuB_X0_I0+0+0+0+1], v[vgprG2LA+16+0:vgprG2LA+16+0+1], v[0:7]
/*  mfmaIndex:1  */
_ds_load_b128 v[vgprValuB_X2_I0+0:vgprValuB_X2_I0+0+3], v[vgprLocalReadAddrB] offset:64 // L -> Reg lro=8 swapByteOffset=0 ti=16 vIdx=0 rIdx=0 oIdx=0 buffer=2 iui=0
v_mfma_f64_16x16x4_f64 v[16+0:23+0], v[vgprValuB_X0_I0+4+0+0:vgprValuB_X0_I0+4+0+0+1], v[vgprG2LA+16+0:vgprG2LA+16+0+1], v[16:23]
/*  mfmaIndex:2  */
_ds_load_b128 v[vgprValuB_X2_I0+4:vgprValuB_X2_I0+4+3], v[vgprLocalReadAddrB] offset:2624 // L -> Reg lro=8 swapByteOffset=0 ti=16 vIdx=1 rIdx=0 oIdx=0 buffer=2 iui=0
	;; [unrolled: 3-line block ×4, first 2 shown]
/* localReadsVacancy: latencyLeft 1 */
v_mfma_f64_16x16x4_f64 v[56+0:63+0], v[vgprValuB_X0_I0+12+0+0:vgprValuB_X0_I0+12+0+0+1], v[vgprG2LA+18+0:vgprG2LA+18+0+1], v[56:63]
/*  mfmaIndex:5  */
/* localReadsVacancy: latencyLeft 5 */
v_mfma_f64_16x16x4_f64 v[40+0:47+0], v[vgprValuB_X0_I0+8+0+0:vgprValuB_X0_I0+8+0+0+1], v[vgprG2LA+18+0:vgprG2LA+18+0+1], v[40:47]
/*  mfmaIndex:6  */
	;; [unrolled: 3-line block ×3, first 2 shown]
/* localReadsVacancy: latencyLeft 5 */
v_mfma_f64_16x16x4_f64 v[8+0:15+0], v[vgprValuB_X0_I0+0+0+0:vgprValuB_X0_I0+0+0+0+1], v[vgprG2LA+18+0:vgprG2LA+18+0+1], v[8:15]
/* numPrefetchIter=0 */
/* dataAtIterA=-1 numReadsIterA=1 skipReadsIterA=1 readsPerIterA=1 */
/* dataAtIterB=-1 numReadsIterB=1 skipReadsIterB=1 readsPerIterB=4 */


/* iter 1 (last unrolled loop) */

s_waitcnt vmcnt(2)                                 // lgkmcnt=-1 vmcnt=2global read wait for DirectToVgpr

/*  grEndMfmaIndex:0, lwStartMfmaIndex:22, lwEndMfmaIndex:22  */
/*  numMfmaForLR:7, barrierMfmaIndex:24, LocalWritePerMfma:0.165 */
/*  mfmaIndex:8  */
/* localReadsVacancy: latencyLeft 5 */
v_mfma_f64_16x16x4_f64 v[0+0:7+0], v[vgprValuB_X0_I0+0+2+0:vgprValuB_X0_I0+0+2+0+1], v[vgprG2LA+20+0:vgprG2LA+20+0+1], v[0:7]
/*  mfmaIndex:9  */
/* localReadsVacancy: latencyLeft 5 */
v_mfma_f64_16x16x4_f64 v[16+0:23+0], v[vgprValuB_X0_I0+4+2+0:vgprValuB_X0_I0+4+2+0+1], v[vgprG2LA+20+0:vgprG2LA+20+0+1], v[16:23]
	;; [unrolled: 3-line block ×8, first 2 shown]


/* iter 2 (last unrolled loop) */

s_waitcnt vmcnt(1)                                 // lgkmcnt=-1 vmcnt=1global read wait for DirectToVgpr

/*  grEndMfmaIndex:0, lwStartMfmaIndex:22, lwEndMfmaIndex:22  */
/*  numMfmaForLR:7, barrierMfmaIndex:24, LocalWritePerMfma:0.165 */
/*  mfmaIndex:16  */
/* localReadsVacancy: latencyLeft 5 */
s_waitcnt lgkmcnt(0)                               // lgkmcnt=0 vmcnt=-1wait for prior local read local write old=0, new=0 newLW=0 newLR=0
v_mfma_f64_16x16x4_f64 v[0+0:7+0], v[vgprValuB_X2_I0+0+0+0:vgprValuB_X2_I0+0+0+0+1], v[vgprG2LA+24+0:vgprG2LA+24+0+1], v[0:7]
/*  mfmaIndex:17  */
/* localReadsVacancy: latencyLeft 5 */
v_mfma_f64_16x16x4_f64 v[16+0:23+0], v[vgprValuB_X2_I0+4+0+0:vgprValuB_X2_I0+4+0+0+1], v[vgprG2LA+24+0:vgprG2LA+24+0+1], v[16:23]
/*  mfmaIndex:18  */
/* localReadsVacancy: latencyLeft 5 */
v_mfma_f64_16x16x4_f64 v[32+0:39+0], v[vgprValuB_X2_I0+8+0+0:vgprValuB_X2_I0+8+0+0+1], v[vgprG2LA+24+0:vgprG2LA+24+0+1], v[32:39]
/*  mfmaIndex:19  */
/* localReadsVacancy: latencyLeft 5 */
v_mfma_f64_16x16x4_f64 v[48+0:55+0], v[vgprValuB_X2_I0+12+0+0:vgprValuB_X2_I0+12+0+0+1], v[vgprG2LA+24+0:vgprG2LA+24+0+1], v[48:55]
/*  mfmaIndex:20  */
/* localReadsVacancy: latencyLeft 5 */
v_mfma_f64_16x16x4_f64 v[56+0:63+0], v[vgprValuB_X2_I0+12+0+0:vgprValuB_X2_I0+12+0+0+1], v[vgprG2LA+26+0:vgprG2LA+26+0+1], v[56:63]
/*  mfmaIndex:21  */
/* localReadsVacancy: latencyLeft 5 */
/* 1 LDS buffer: read-sync-write */
s_waitcnt lgkmcnt(0)                               // 
s_barrier                                          // 
v_mfma_f64_16x16x4_f64 v[40+0:47+0], v[vgprValuB_X2_I0+8+0+0:vgprValuB_X2_I0+8+0+0+1], v[vgprG2LA+26+0:vgprG2LA+26+0+1], v[40:47]
/*  mfmaIndex:22  */
/* localReadsVacancy: latencyLeft 5 */
v_mfma_f64_16x16x4_f64 v[24+0:31+0], v[vgprValuB_X2_I0+4+0+0:vgprValuB_X2_I0+4+0+0+1], v[vgprG2LA+26+0:vgprG2LA+26+0+1], v[24:31]
/*  mfmaIndex:23  */
v_mfma_f64_16x16x4_f64 v[8+0:15+0], v[vgprValuB_X2_I0+0+0+0:vgprValuB_X2_I0+0+0+0+1], v[vgprG2LA+26+0:vgprG2LA+26+0+1], v[8:15]
/* numPrefetchIter=0 */
/* dataAtIterA=1 numReadsIterA=3 skipReadsIterA=1 readsPerIterA=1 */
/* dataAtIterB=0 numReadsIterB=1 skipReadsIterB=0 readsPerIterB=4 */


/* iter 3 (last unrolled loop) */

s_waitcnt vmcnt(0)                                 // lgkmcnt=-1 vmcnt=0global read wait for DirectToVgpr

/*  grEndMfmaIndex:0, lwStartMfmaIndex:22, lwEndMfmaIndex:22  */
/*  numMfmaForLR:7, barrierMfmaIndex:24, LocalWritePerMfma:0.165 */
/*  mfmaIndex:24  */
v_mfma_f64_16x16x4_f64 v[0+0:7+0], v[vgprValuB_X2_I0+0+2+0:vgprValuB_X2_I0+0+2+0+1], v[vgprG2LA+28+0:vgprG2LA+28+0+1], v[0:7]
/*  mfmaIndex:25  */
v_mfma_f64_16x16x4_f64 v[16+0:23+0], v[vgprValuB_X2_I0+4+2+0:vgprValuB_X2_I0+4+2+0+1], v[vgprG2LA+28+0:vgprG2LA+28+0+1], v[16:23]
	;; [unrolled: 2-line block ×8, first 2 shown]

label_0033: // EvenEndNoLoadLoopOrd 

PrefetchGlobalLastIterEnd_5:


/******************************************/
/* Tail Loop                              */
/******************************************/


/* local write reset offsets a */


	;; [unrolled: 1-line block ×4, first 2 shown]
/* local write reset offsets b */


	;; [unrolled: 1-line block ×4, first 2 shown]
//numIterL = (((sizeL % LOCAL_DEPTHU) + LOCAL_SPLITU - 1) / LOCAL_SPLITU)
s_and_b32 s[sgprLoopCounterL], 15, s[sgprSizesSum+0] // s[sgprLoopCounterL] = s[sgprSizesSum+0] % 16
s_cmp_eq_u32 s[sgprLoopCounterL], 0x0              // numIterL == 0
s_cbranch_scc1 SkipTailLoopL_8                     // skip to end of tail loop b/c numIter==0
s_mov_b32 s[sgprOrigLoopCounter], 0                // repurpose to count each localRead increment


/* Update M0 for DTLDS */



/* global read b */

/* g2l=0, load component 0 */
_buffer_load_b64 v[vgprG2LB+0+0:vgprG2LB+0+0+1], v[vgprGlobalReadOffsetB+0], s[sgprSrdB:sgprSrdB+3], 0, offen offset:0 // load one buffer value
/* g2l=0, load component 1 */
_buffer_load_b64 v[vgprG2LB+0+2:vgprG2LB+0+2+1], v[vgprGlobalReadOffsetB+0], s[sgprSrdB:sgprSrdB+3], 0, offen offset:8 // load one buffer value
	;; [unrolled: 2-line block ×4, first 2 shown]


/* Update M0 for DTLDS */


	;; [unrolled: 1-line block ×3, first 2 shown]
/* global read a */

/* g2l=0, load component 0 */
_buffer_load_b64 v[vgprG2LA+0+0:vgprG2LA+0+0+1], v[vgprGlobalReadOffsetA+0], s[sgprSrdA:sgprSrdA+3], 0, offen offset:0 // load one buffer value
/* g2l=0, load component 1 */
_buffer_load_b64 v[vgprG2LA+0+2:vgprG2LA+0+2+1], v[vgprGlobalReadOffsetA+0], s[sgprSrdA:sgprSrdA+3], 0, offen offset:8 // load one buffer value
	;; [unrolled: 2-line block ×8, first 2 shown]

s_waitcnt vmcnt(0)                                 // lgkmcnt=-1 vmcnt=02wait for global read

// Skip force waitcnt0
s_barrier //


/* Done global A/B reads */


	;; [unrolled: 1-line block ×4, first 2 shown]
/* local write a */


	;; [unrolled: 1-line block ×3, first 2 shown]
/* local write b */

_ds_store_b128 v[vgprLocalWriteAddrB], v[vgprG2LB+0:vgprG2LB+0+3] offset:0 // lwoB_0_0_0_0 = (0*LSCB)*(MT1J+PAD) + (0*LSPB) = 0
_ds_store_b128 v[vgprLocalWriteAddrB], v[vgprG2LB+4:vgprG2LB+4+3] offset:5120 // lwoB_0_0_1_0 = (0*LSCB)*(MT1J+PAD) + (1*LSPB) = 5120

s_waitcnt lgkmcnt(0)                               // lgkmcnt=0 vmcnt=-15wait for local write

// Skip force waitcnt0
s_barrier //


/* local read reset offsets a */


	;; [unrolled: 1-line block ×3, first 2 shown]
/* local read reset offsets b */


	;; [unrolled: 1-line block ×3, first 2 shown]
/* local read init pointers a */


	;; [unrolled: 1-line block ×3, first 2 shown]
/* local read init pointers b */


/* localReadInitPointers */


/* tail loop: macs */

TailLoopBeginL_6:


/* tail loop unroll iter 0 */


/* local read a */


	;; [unrolled: 1-line block ×3, first 2 shown]
/* local read b */

_ds_load_b128 v[vgprValuB_X0_I0+0:vgprValuB_X0_I0+0+3], v[vgprLocalReadAddrB] offset:0 // L -> Reg lro=0 swapByteOffset=0 ti=16 vIdx=0 rIdx=0 oIdx=0 buffer=0 iui=0
_ds_load_b128 v[vgprValuB_X0_I0+4:vgprValuB_X0_I0+4+3], v[vgprLocalReadAddrB] offset:2560 // L -> Reg lro=0 swapByteOffset=0 ti=16 vIdx=1 rIdx=0 oIdx=0 buffer=0 iui=0
_ds_load_b128 v[vgprValuB_X0_I0+8:vgprValuB_X0_I0+8+3], v[vgprLocalReadAddrB] offset:5120 // L -> Reg lro=0 swapByteOffset=0 ti=16 vIdx=2 rIdx=0 oIdx=0 buffer=0 iui=0
_ds_load_b128 v[vgprValuB_X0_I0+12:vgprValuB_X0_I0+12+3], v[vgprLocalReadAddrB] offset:7680 // L -> Reg lro=0 swapByteOffset=0 ti=16 vIdx=3 rIdx=0 oIdx=0 buffer=0 iui=0


/* local read inc a */


	;; [unrolled: 1-line block ×3, first 2 shown]
/* local read inc b */

s_mov_b32 s31, 0x40                                // inc
_v_add_co_u32 v[vgprLocalReadAddrB], vcc, s31, v[vgprLocalReadAddrB] // lrB += 64 (LSU*bpe)

s_waitcnt lgkmcnt(0)                               // lgkmcnt=0 vmcnt=-14wait for local read


	;; [unrolled: 1-line block ×3, first 2 shown]
/* tail loop mfma iter 0: numReadsIterCoalescedA=1, numReadsIterCoalescedB=2 */
v_and_b32 v146, 63, v[vgprSerial]                  // v146 = v[vgprSerial] % 64
v_lshrrev_b32 v146, 4, v146                        // v146 = v146 / 16
v_lshlrev_b32 v146, 0x1, v146                      // v146 = v146 * 2
v_cmp_ge_i32 s[32:33], v146, s[sgprLoopCounterL]   // check K index >= Size L
v_cndmask_b32 v[vgprValuB_X0_I0+0+0+0+0], v[vgprValuB_X0_I0+0+0+0+0], 0x0, s[32:33] // set 0 if K_idx >= sizeL
v_cndmask_b32 v[vgprValuB_X0_I0+4+0+0+0], v[vgprValuB_X0_I0+4+0+0+0], 0x0, s[32:33] // set 0 if K_idx >= sizeL
	;; [unrolled: 1-line block ×8, first 2 shown]
s_nop 1
v_mfma_f64_16x16x4_f64 v[0+0:7+0], v[vgprValuB_X0_I0+0+0+0:vgprValuB_X0_I0+0+0+0+1], v[vgprG2LA+0+0:vgprG2LA+0+0+1], v[0:7]
v_mfma_f64_16x16x4_f64 v[16+0:23+0], v[vgprValuB_X0_I0+4+0+0:vgprValuB_X0_I0+4+0+0+1], v[vgprG2LA+0+0:vgprG2LA+0+0+1], v[16:23]
v_mfma_f64_16x16x4_f64 v[32+0:39+0], v[vgprValuB_X0_I0+8+0+0:vgprValuB_X0_I0+8+0+0+1], v[vgprG2LA+0+0:vgprG2LA+0+0+1], v[32:39]
v_mfma_f64_16x16x4_f64 v[48+0:55+0], v[vgprValuB_X0_I0+12+0+0:vgprValuB_X0_I0+12+0+0+1], v[vgprG2LA+0+0:vgprG2LA+0+0+1], v[48:55]
v_mfma_f64_16x16x4_f64 v[56+0:63+0], v[vgprValuB_X0_I0+12+0+0:vgprValuB_X0_I0+12+0+0+1], v[vgprG2LA+2+0:vgprG2LA+2+0+1], v[56:63]
v_mfma_f64_16x16x4_f64 v[40+0:47+0], v[vgprValuB_X0_I0+8+0+0:vgprValuB_X0_I0+8+0+0+1], v[vgprG2LA+2+0:vgprG2LA+2+0+1], v[40:47]
v_mfma_f64_16x16x4_f64 v[24+0:31+0], v[vgprValuB_X0_I0+4+0+0:vgprValuB_X0_I0+4+0+0+1], v[vgprG2LA+2+0:vgprG2LA+2+0+1], v[24:31]
v_mfma_f64_16x16x4_f64 v[8+0:15+0], v[vgprValuB_X0_I0+0+0+0:vgprValuB_X0_I0+0+0+0+1], v[vgprG2LA+2+0:vgprG2LA+2+0+1], v[8:15]


	;; [unrolled: 1-line block ×3, first 2 shown]
/* tail loop unroll iter 1 */


/* local read a */


	;; [unrolled: 1-line block ×3, first 2 shown]
/* local read b */

_ds_load_b128 v[vgprValuB_X2_I0+0:vgprValuB_X2_I0+0+3], v[vgprLocalReadAddrB] offset:0 // L -> Reg lro=0 swapByteOffset=0 ti=16 vIdx=0 rIdx=0 oIdx=0 buffer=2 iui=0
_ds_load_b128 v[vgprValuB_X2_I0+4:vgprValuB_X2_I0+4+3], v[vgprLocalReadAddrB] offset:2560 // L -> Reg lro=0 swapByteOffset=0 ti=16 vIdx=1 rIdx=0 oIdx=0 buffer=2 iui=0
	;; [unrolled: 1-line block ×4, first 2 shown]


/* local read inc a */


	;; [unrolled: 1-line block ×3, first 2 shown]
/* local read inc b */

s_mov_b32 s31, 0x60                                // inc
_v_add_co_u32 v[vgprLocalReadAddrB], vcc, s31, v[vgprLocalReadAddrB] // lrB += 96 (LSU*bpe)

s_waitcnt lgkmcnt(0)                               // lgkmcnt=0 vmcnt=-14wait for local read


	;; [unrolled: 1-line block ×3, first 2 shown]
/* tail loop mfma iter 1: numReadsIterCoalescedA=1, numReadsIterCoalescedB=2 */
v_and_b32 v146, 63, v[vgprSerial]                  // v146 = v[vgprSerial] % 64
v_lshrrev_b32 v146, 4, v146                        // v146 = v146 / 16
v_lshlrev_b32 v146, 0x1, v146                      // v146 = v146 * 2
_v_add_u32 v146, 0x1, v146                         // k += (u%%numReadsIterCoalesced) * numMIInput
v_cmp_ge_i32 s[32:33], v146, s[sgprLoopCounterL]   // check K index >= Size L
v_cndmask_b32 v[vgprValuB_X0_I0+0+2+0+0], v[vgprValuB_X0_I0+0+2+0+0], 0x0, s[32:33] // set 0 if K_idx >= sizeL
v_cndmask_b32 v[vgprValuB_X0_I0+4+2+0+0], v[vgprValuB_X0_I0+4+2+0+0], 0x0, s[32:33] // set 0 if K_idx >= sizeL
	;; [unrolled: 1-line block ×8, first 2 shown]
s_nop 1
v_mfma_f64_16x16x4_f64 v[0+0:7+0], v[vgprValuB_X0_I0+0+2+0:vgprValuB_X0_I0+0+2+0+1], v[vgprG2LA+4+0:vgprG2LA+4+0+1], v[0:7]
v_mfma_f64_16x16x4_f64 v[16+0:23+0], v[vgprValuB_X0_I0+4+2+0:vgprValuB_X0_I0+4+2+0+1], v[vgprG2LA+4+0:vgprG2LA+4+0+1], v[16:23]
	;; [unrolled: 1-line block ×8, first 2 shown]


/* closeLoop loopL finalLoop=0 tailLoop=1 */
s_sub_i32 s[sgprLoopCounterL], s[sgprLoopCounterL], 0x8 // dec counterL (tailLoop)
s_add_u32 s[sgprOrigLoopCounter], s[sgprOrigLoopCounter], 0x8 // inc counterL
s_cmp_le_i32 s[sgprLoopCounterL], 0x0              // counterL<=0
s_cbranch_scc1 TailLoopEndL_7                      // exit LoopL


/* tail loop unroll iter 2 */


/* local read a */


	;; [unrolled: 1-line block ×3, first 2 shown]
/* local read inc a */


	;; [unrolled: 1-line block ×3, first 2 shown]
/* local read inc b */

s_mov_b32 s31, 0x40                                // inc
_v_add_co_u32 v[vgprLocalReadAddrB], vcc, s31, v[vgprLocalReadAddrB] // lrB += 64 (LSU*bpe)

s_waitcnt lgkmcnt(0)                               // lgkmcnt=0 vmcnt=-14wait for local read


	;; [unrolled: 1-line block ×3, first 2 shown]
/* tail loop mfma iter 2: numReadsIterCoalescedA=1, numReadsIterCoalescedB=2 */
v_and_b32 v146, 63, v[vgprSerial]                  // v146 = v[vgprSerial] % 64
v_lshrrev_b32 v146, 4, v146                        // v146 = v146 / 16
v_lshlrev_b32 v146, 0x1, v146                      // v146 = v146 * 2
v_cmp_ge_i32 s[32:33], v146, s[sgprLoopCounterL]   // check K index >= Size L
v_cndmask_b32 v[vgprValuB_X2_I0+0+0+0+0], v[vgprValuB_X2_I0+0+0+0+0], 0x0, s[32:33] // set 0 if K_idx >= sizeL
v_cndmask_b32 v[vgprValuB_X2_I0+4+0+0+0], v[vgprValuB_X2_I0+4+0+0+0], 0x0, s[32:33] // set 0 if K_idx >= sizeL
	;; [unrolled: 1-line block ×8, first 2 shown]
s_nop 1
v_mfma_f64_16x16x4_f64 v[0+0:7+0], v[vgprValuB_X2_I0+0+0+0:vgprValuB_X2_I0+0+0+0+1], v[vgprG2LA+8+0:vgprG2LA+8+0+1], v[0:7]
v_mfma_f64_16x16x4_f64 v[16+0:23+0], v[vgprValuB_X2_I0+4+0+0:vgprValuB_X2_I0+4+0+0+1], v[vgprG2LA+8+0:vgprG2LA+8+0+1], v[16:23]
	;; [unrolled: 1-line block ×8, first 2 shown]


	;; [unrolled: 1-line block ×3, first 2 shown]
/* tail loop unroll iter 3 */


/* local read a */


	;; [unrolled: 1-line block ×3, first 2 shown]
/* local read inc a */


	;; [unrolled: 1-line block ×3, first 2 shown]
/* local read inc b */

s_mov_b32 s31, 0x60                                // inc
_v_add_co_u32 v[vgprLocalReadAddrB], vcc, s31, v[vgprLocalReadAddrB] // lrB += 96 (LSU*bpe)

s_waitcnt lgkmcnt(0)                               // lgkmcnt=0 vmcnt=-14wait for local read


	;; [unrolled: 1-line block ×3, first 2 shown]
/* tail loop mfma iter 3: numReadsIterCoalescedA=1, numReadsIterCoalescedB=2 */
v_and_b32 v146, 63, v[vgprSerial]                  // v146 = v[vgprSerial] % 64
v_lshrrev_b32 v146, 4, v146                        // v146 = v146 / 16
v_lshlrev_b32 v146, 0x1, v146                      // v146 = v146 * 2
_v_add_u32 v146, 0x1, v146                         // k += (u%%numReadsIterCoalesced) * numMIInput
v_cmp_ge_i32 s[32:33], v146, s[sgprLoopCounterL]   // check K index >= Size L
v_cndmask_b32 v[vgprValuB_X2_I0+0+2+0+0], v[vgprValuB_X2_I0+0+2+0+0], 0x0, s[32:33] // set 0 if K_idx >= sizeL
v_cndmask_b32 v[vgprValuB_X2_I0+4+2+0+0], v[vgprValuB_X2_I0+4+2+0+0], 0x0, s[32:33] // set 0 if K_idx >= sizeL
	;; [unrolled: 1-line block ×8, first 2 shown]
s_nop 1
v_mfma_f64_16x16x4_f64 v[0+0:7+0], v[vgprValuB_X2_I0+0+2+0:vgprValuB_X2_I0+0+2+0+1], v[vgprG2LA+12+0:vgprG2LA+12+0+1], v[0:7]
v_mfma_f64_16x16x4_f64 v[16+0:23+0], v[vgprValuB_X2_I0+4+2+0:vgprValuB_X2_I0+4+2+0+1], v[vgprG2LA+12+0:vgprG2LA+12+0+1], v[16:23]
v_mfma_f64_16x16x4_f64 v[32+0:39+0], v[vgprValuB_X2_I0+8+2+0:vgprValuB_X2_I0+8+2+0+1], v[vgprG2LA+12+0:vgprG2LA+12+0+1], v[32:39]
v_mfma_f64_16x16x4_f64 v[48+0:55+0], v[vgprValuB_X2_I0+12+2+0:vgprValuB_X2_I0+12+2+0+1], v[vgprG2LA+12+0:vgprG2LA+12+0+1], v[48:55]
v_mfma_f64_16x16x4_f64 v[8+0:15+0], v[vgprValuB_X2_I0+0+2+0:vgprValuB_X2_I0+0+2+0+1], v[vgprG2LA+14+0:vgprG2LA+14+0+1], v[8:15]
v_mfma_f64_16x16x4_f64 v[24+0:31+0], v[vgprValuB_X2_I0+4+2+0:vgprValuB_X2_I0+4+2+0+1], v[vgprG2LA+14+0:vgprG2LA+14+0+1], v[24:31]
v_mfma_f64_16x16x4_f64 v[40+0:47+0], v[vgprValuB_X2_I0+8+2+0:vgprValuB_X2_I0+8+2+0+1], v[vgprG2LA+14+0:vgprG2LA+14+0+1], v[40:47]
v_mfma_f64_16x16x4_f64 v[56+0:63+0], v[vgprValuB_X2_I0+12+2+0:vgprValuB_X2_I0+12+2+0+1], v[vgprG2LA+14+0:vgprG2LA+14+0+1], v[56:63]


/* closeLoop loopL finalLoop=1 tailLoop=1 */
s_sub_i32 s[sgprLoopCounterL], s[sgprLoopCounterL], 0x8 // dec counterL (tailLoop)
s_add_u32 s[sgprOrigLoopCounter], s[sgprOrigLoopCounter], 0x8 // inc counterL
s_cmp_le_i32 s[sgprLoopCounterL], 0x0              // counterL<=0
s_cbranch_scc0 TailLoopBeginL_6                    // restart LoopL
TailLoopEndL_7:

SkipTailLoopL_8:

Summation_End_36:
/* endSummation: add vgpr [64...144) to pool */

/* Mapping of Acc register -> C Vgpr register */

/* Multiply MI out register with Alpha -> C Vgpr register */



/* not-LocalSplitU: global write indices */

/* computeStoreVgprs */
v_lshrrev_b32 v68, 6, v[vgprSerial]                // v68 = v[vgprSerial] / 64
v_and_b32 v65, 63, v[vgprSerial]                   // v65 = v[vgprSerial] % 64
v_lshrrev_b32 v65, 4, v65                          // v65 = v65 / 16
                                                   // thread0 * continuous_output (multiplier is 1, do nothing)
v_lshrrev_b32 v69, 2, v68                          // v69 = v68 / 4
v_mul_lo_u32 v69, 0x10, v69                        // wave coordination offset 1
_v_add_lshl_u32 v65, v69, v65, 0                   // coordination 1 = vwb *(wave_id1 + tid1)
v_mul_lo_u32 v66, v65, s[sgprStrideC1J]            //  offset 1
v_mul_lo_u32 v67, v65, s[sgprStrideD1J]            //  offset 1
v_and_b32 v69, 3, v68                              // v69 = v68 % 4
v_mul_lo_u32 v69, 0x10, v69                        // wave coordination offset 0
v_and_b32 v64, 15, v[vgprSerial]                   // v64 = v[vgprSerial] % 16
_v_add_lshl_u32 v64, v69, v64, 1                   // coordination 0 = vwa *(wave_id0 + tid0)
s_mul_i32 s31, 128, s[sgprWorkGroup0]              // wgp0 * MT0
_v_add_u32 v64, s31, v64                           // coord 0 = (tid0/MI_m)*4 + waveG0*MIB_m + MT0*SG0
s_mul_i32 s31, 64, s[sgprWorkGroup1]               // wgp1 * MT1
_v_add_u32 v65, s31, v65                           // coord 1 = (tid0%MI_m) + waveG1*MIB_n + MT1*SG1


/* not-LocalSplitU: global write */

s_mov_b32 s31, s[sgprBeta+0]                       // tmp = Beta[0]
s_or_b32 s31, s[sgprBeta+1], s31                   // tmp |= Beta[1] 
s_cmpk_eq_u32 s31, 0x0                             // Beta == 0
s_cbranch_scc0 GW_Beta_51                          // Branch if Beta is not zero

s_and_b32 s32, 127, s[sgprSizeI]                   // s32 = s[sgprSizeI] % 128
s_add_u32 s33, -0x1, s[sgprNumWorkGroups0]         // 
s_cmp_ge_u32 s[sgprWorkGroup0], s33                // wg0 >= nwg0-1 ?
s_cselect_b32 s32, s32, 0                          // set rMT0
s_cmpk_gt_u32 s32, 0x0                             // rMT0 > 0
s_cbranch_scc1 GW_B0_E1_42                         // jump if edges required
s_and_b32 s32, 63, s[sgprSizeJ]                    // s32 = s[sgprSizeJ] % 64
s_add_u32 s33, -0x1, s[sgprNumWorkGroups1]         // 
s_cmp_ge_u32 s[sgprWorkGroup1], s33                // wg1 >= nwg1-1
s_cselect_b32 s32, s32, 0                          // set rMT1
s_cmpk_gt_u32 s32, 0x0                             // rMT1 > 0
s_cbranch_scc1 GW_B0_E1_42                         // jump if edges required
GW_B0_E0_39:

/* edge=0, allocate 2 sgpr. perBatchTmpS=2 perBatchMaskS=0 perElementMaskS=0 elementsPerBatch=4 */
/* optSingleColVgpr=1 optSharedColVgpr=0 optSGPRUsage=BufferLoad_Mask optSrdIncForRow=1 */

/******************************************/
/* Global Write Alpha Batch #0 (d1,d0,vc1,vc0) = */
/*    (0,0,0,0:vw2); (1,0,0,0:vw2); (2,0,0,0:vw2); (3,0,0,0:vw2) */
/******************************************/

/* calc coords, apply mask, and issue loads (if necessary) */
/* (d1,vc1,d0,vc0)=(0,0,0,0) */
/* (d1,vc1,d0,vc0)=(1,0,0,0) */
	;; [unrolled: 1-line block ×4, first 2 shown]
_v_add_lshl_u32 v70, v67, v64, 0x3                 // optSingleColVgpr scaleToBpe: sharedAddrVgpr <- cinRowPtr + coord0, scaled by BPE. BSHERE:coord0=64, coord0Vgpr=64

/* rC *= alpha batchElements=[(0, 0, 0, 0), (1, 0, 0, 0), (2, 0, 0, 0), (3, 0, 0, 0)] */
v_mul_f64 v[vgprValuC+72:vgprValuC+72+1], s[sgprAlpha:sgprAlpha+1], v[vgprValuC+0:vgprValuC+0+1] // Multiply MI out reg with alpha
v_mul_f64 v[vgprValuC+74:vgprValuC+74+1], s[sgprAlpha:sgprAlpha+1], v[vgprValuC+8:vgprValuC+8+1] // Multiply MI out reg with alpha
	;; [unrolled: 1-line block ×8, first 2 shown]

/* apply mask, calc new C and issue writes */
_buffer_store_b128 v[72:75], v70, s[sgprSrdD:sgprSrdD+3], 0, offen, offset:0,  sc0 sc1 // store D
s_mul_i32 s32, s[sgprStrideD1J], 32                // scale StrideD *= numRows(4) * bpe
s_add_u32  s[sgprSrdD+0], s[sgprSrdD+0], s32       // incToNextRow: gra SRD += inc(lower)
s_addc_u32  s[sgprSrdD+1], s[sgprSrdD+1], 0        // incToNextRow: gra SRD += inc(upper)
_buffer_store_b128 v[76:79], v70, s[sgprSrdD:sgprSrdD+3], 0, offen, offset:0,  sc0 sc1 // store D
s_mul_i32 s32, s[sgprStrideD1J], 32                // scale StrideD *= numRows(4) * bpe
s_add_u32  s[sgprSrdD+0], s[sgprSrdD+0], s32       // incToNextRow: gra SRD += inc(lower)
s_addc_u32  s[sgprSrdD+1], s[sgprSrdD+1], 0        // incToNextRow: gra SRD += inc(upper)
_buffer_store_b128 v[80:83], v70, s[sgprSrdD:sgprSrdD+3], 0, offen, offset:0,  sc0 sc1 // store D
s_mul_i32 s32, s[sgprStrideD1J], 32                // scale StrideD *= numRows(4) * bpe
s_add_u32  s[sgprSrdD+0], s[sgprSrdD+0], s32       // incToNextRow: gra SRD += inc(lower)
s_addc_u32  s[sgprSrdD+1], s[sgprSrdD+1], 0        // incToNextRow: gra SRD += inc(upper)
_buffer_store_b128 v[84:87], v70, s[sgprSrdD:sgprSrdD+3], 0, offen, offset:0,  sc0 sc1 // store D
s_nop 0                                            // 1 wait state required when next inst writes vgprs held by previous dwordx4 store inst
/* optSingleColVgpr=1 optSharedColVgpr=0 optSGPRUsage=BufferLoad_Mask optSrdIncForRow=1 */

/******************************************/
/* Global Write Alpha Batch #1 (d1,d0,vc1,vc0) = */
/*    (4,0,0,0:vw2); (5,0,0,0:vw2); (6,0,0,0:vw2); (7,0,0,0:vw2) */
/******************************************/

/* calc coords, apply mask, and issue loads (if necessary) */
/* (d1,vc1,d0,vc0)=(4,0,0,0) */
/* (d1,vc1,d0,vc0)=(5,0,0,0) */
/* (d1,vc1,d0,vc0)=(6,0,0,0) */
/* (d1,vc1,d0,vc0)=(7,0,0,0) */

/* rC *= alpha batchElements=[(4, 0, 0, 0), (5, 0, 0, 0), (6, 0, 0, 0), (7, 0, 0, 0)] */
v_mul_f64 v[vgprValuC+72:vgprValuC+72+1], s[sgprAlpha:sgprAlpha+1], v[vgprValuC+16:vgprValuC+16+1] // Multiply MI out reg with alpha
v_mul_f64 v[vgprValuC+74:vgprValuC+74+1], s[sgprAlpha:sgprAlpha+1], v[vgprValuC+24:vgprValuC+24+1] // Multiply MI out reg with alpha
v_mul_f64 v[vgprValuC+76:vgprValuC+76+1], s[sgprAlpha:sgprAlpha+1], v[vgprValuC+18:vgprValuC+18+1] // Multiply MI out reg with alpha
v_mul_f64 v[vgprValuC+78:vgprValuC+78+1], s[sgprAlpha:sgprAlpha+1], v[vgprValuC+26:vgprValuC+26+1] // Multiply MI out reg with alpha
v_mul_f64 v[vgprValuC+80:vgprValuC+80+1], s[sgprAlpha:sgprAlpha+1], v[vgprValuC+20:vgprValuC+20+1] // Multiply MI out reg with alpha
v_mul_f64 v[vgprValuC+82:vgprValuC+82+1], s[sgprAlpha:sgprAlpha+1], v[vgprValuC+28:vgprValuC+28+1] // Multiply MI out reg with alpha
v_mul_f64 v[vgprValuC+84:vgprValuC+84+1], s[sgprAlpha:sgprAlpha+1], v[vgprValuC+22:vgprValuC+22+1] // Multiply MI out reg with alpha
v_mul_f64 v[vgprValuC+86:vgprValuC+86+1], s[sgprAlpha:sgprAlpha+1], v[vgprValuC+30:vgprValuC+30+1] // Multiply MI out reg with alpha

/* apply mask, calc new C and issue writes */
s_mul_i32 s32, s[sgprStrideD1J], 32                // scale StrideD *= numRows(4) * bpe
s_add_u32  s[sgprSrdD+0], s[sgprSrdD+0], s32       // incToNextRow: gra SRD += inc(lower)
s_addc_u32  s[sgprSrdD+1], s[sgprSrdD+1], 0        // incToNextRow: gra SRD += inc(upper)
_buffer_store_b128 v[72:75], v70, s[sgprSrdD:sgprSrdD+3], 0, offen, offset:0,  sc0 sc1 // store D
s_mul_i32 s32, s[sgprStrideD1J], 32                // scale StrideD *= numRows(4) * bpe
s_add_u32  s[sgprSrdD+0], s[sgprSrdD+0], s32       // incToNextRow: gra SRD += inc(lower)
s_addc_u32  s[sgprSrdD+1], s[sgprSrdD+1], 0        // incToNextRow: gra SRD += inc(upper)
_buffer_store_b128 v[76:79], v70, s[sgprSrdD:sgprSrdD+3], 0, offen, offset:0,  sc0 sc1 // store D
s_mul_i32 s32, s[sgprStrideD1J], 32                // scale StrideD *= numRows(4) * bpe
s_add_u32  s[sgprSrdD+0], s[sgprSrdD+0], s32       // incToNextRow: gra SRD += inc(lower)
s_addc_u32  s[sgprSrdD+1], s[sgprSrdD+1], 0        // incToNextRow: gra SRD += inc(upper)
_buffer_store_b128 v[80:83], v70, s[sgprSrdD:sgprSrdD+3], 0, offen, offset:0,  sc0 sc1 // store D
s_mul_i32 s32, s[sgprStrideD1J], 32                // scale StrideD *= numRows(4) * bpe
s_add_u32  s[sgprSrdD+0], s[sgprSrdD+0], s32       // incToNextRow: gra SRD += inc(lower)
s_addc_u32  s[sgprSrdD+1], s[sgprSrdD+1], 0        // incToNextRow: gra SRD += inc(upper)
_buffer_store_b128 v[84:87], v70, s[sgprSrdD:sgprSrdD+3], 0, offen, offset:0,  sc0 sc1 // store D
s_nop 0                                            // 1 wait state required when next inst writes vgprs held by previous dwordx4 store inst
/* optSingleColVgpr=1 optSharedColVgpr=0 optSGPRUsage=BufferLoad_Mask optSrdIncForRow=1 */

/******************************************/
/* Global Write Alpha Batch #2 (d1,d0,vc1,vc0) = */
/*    (8,0,0,0:vw2); (9,0,0,0:vw2); (10,0,0,0:vw2); (11,0,0,0:vw2) */
/******************************************/

/* calc coords, apply mask, and issue loads (if necessary) */
/* (d1,vc1,d0,vc0)=(8,0,0,0) */
/* (d1,vc1,d0,vc0)=(9,0,0,0) */
/* (d1,vc1,d0,vc0)=(10,0,0,0) */
/* (d1,vc1,d0,vc0)=(11,0,0,0) */

/* rC *= alpha batchElements=[(8, 0, 0, 0), (9, 0, 0, 0), (10, 0, 0, 0), (11, 0, 0, 0)] */
v_mul_f64 v[vgprValuC+72:vgprValuC+72+1], s[sgprAlpha:sgprAlpha+1], v[vgprValuC+32:vgprValuC+32+1] // Multiply MI out reg with alpha
v_mul_f64 v[vgprValuC+74:vgprValuC+74+1], s[sgprAlpha:sgprAlpha+1], v[vgprValuC+40:vgprValuC+40+1] // Multiply MI out reg with alpha
v_mul_f64 v[vgprValuC+76:vgprValuC+76+1], s[sgprAlpha:sgprAlpha+1], v[vgprValuC+34:vgprValuC+34+1] // Multiply MI out reg with alpha
v_mul_f64 v[vgprValuC+78:vgprValuC+78+1], s[sgprAlpha:sgprAlpha+1], v[vgprValuC+42:vgprValuC+42+1] // Multiply MI out reg with alpha
v_mul_f64 v[vgprValuC+80:vgprValuC+80+1], s[sgprAlpha:sgprAlpha+1], v[vgprValuC+36:vgprValuC+36+1] // Multiply MI out reg with alpha
v_mul_f64 v[vgprValuC+82:vgprValuC+82+1], s[sgprAlpha:sgprAlpha+1], v[vgprValuC+44:vgprValuC+44+1] // Multiply MI out reg with alpha
v_mul_f64 v[vgprValuC+84:vgprValuC+84+1], s[sgprAlpha:sgprAlpha+1], v[vgprValuC+38:vgprValuC+38+1] // Multiply MI out reg with alpha
v_mul_f64 v[vgprValuC+86:vgprValuC+86+1], s[sgprAlpha:sgprAlpha+1], v[vgprValuC+46:vgprValuC+46+1] // Multiply MI out reg with alpha

/* apply mask, calc new C and issue writes */
s_mul_i32 s32, s[sgprStrideD1J], 32                // scale StrideD *= numRows(4) * bpe
s_add_u32  s[sgprSrdD+0], s[sgprSrdD+0], s32       // incToNextRow: gra SRD += inc(lower)
s_addc_u32  s[sgprSrdD+1], s[sgprSrdD+1], 0        // incToNextRow: gra SRD += inc(upper)
	;; [unrolled: 41-line block ×3, first 2 shown]
_buffer_store_b128 v[72:75], v70, s[sgprSrdD:sgprSrdD+3], 0, offen, offset:0,  sc0 sc1 // store D
s_mul_i32 s32, s[sgprStrideD1J], 32                // scale StrideD *= numRows(4) * bpe
s_add_u32  s[sgprSrdD+0], s[sgprSrdD+0], s32       // incToNextRow: gra SRD += inc(lower)
s_addc_u32  s[sgprSrdD+1], s[sgprSrdD+1], 0        // incToNextRow: gra SRD += inc(upper)
_buffer_store_b128 v[76:79], v70, s[sgprSrdD:sgprSrdD+3], 0, offen, offset:0,  sc0 sc1 // store D
s_mul_i32 s32, s[sgprStrideD1J], 32                // scale StrideD *= numRows(4) * bpe
s_add_u32  s[sgprSrdD+0], s[sgprSrdD+0], s32       // incToNextRow: gra SRD += inc(lower)
s_addc_u32  s[sgprSrdD+1], s[sgprSrdD+1], 0        // incToNextRow: gra SRD += inc(upper)
	;; [unrolled: 4-line block ×3, first 2 shown]
_buffer_store_b128 v[84:87], v70, s[sgprSrdD:sgprSrdD+3], 0, offen, offset:0,  sc0 sc1 // store D
s_nop 0                                            // 1 wait state required when next inst writes vgprs held by previous dwordx4 store inst
s_branch label_GW_End_50                           // jump to end
GW_B0_E1_42:

/* edge=1, allocate 6 sgpr. perBatchTmpS=4 perBatchMaskS=2 perElementMaskS=0 elementsPerBatch=4 */
/* optSingleColVgpr=0 optSharedColVgpr=0 optSGPRUsage=BufferLoad_Edge_Mask optSrdIncForRow=0 */

/******************************************/
/* Global Write Alpha Edge Batch #0 (d1,d0,vc1,vc0) = */
/*    (0,0,0,0:vw1); (0,0,0,1:vw1); (1,0,0,0:vw1); (1,0,0,1:vw1) */
/******************************************/

/* calc coords, apply mask, and issue loads (if necessary) */
/* (d1,vc1,d0,vc0)=(0,0,0,0) */
v_cmp_lt_u32 s[54:55], v64, s[sgprSizeI]           // coord0 < size0
v_cmp_lt_u32 s[58:59], v65, s[sgprSizeJ]           // coord1 < size1
s_and_b64 s[58:59], s[54:55], s[58:59]             // in0 && in1
_v_add_lshl_u32 v70, v67, v64, 0x3                 // scaleToBpe: accumulate d0 lower and *= bpe into Cin addr
v_cndmask_b32 v70, -1, v70, s[58:59]               // LDD clip if OOB. offset
/* (d1,vc1,d0,vc0)=(0,0,0,1) */
_v_add_co_u32 v68, vcc, v64, 1                     // coord0.1: coord0 += d0*sg0*VW + vc0
v_cmp_lt_u32 s[54:55], v68, s[sgprSizeI]           // coord0 < size0
v_cmp_lt_u32 s[58:59], v65, s[sgprSizeJ]           // coord1 < size1
s_and_b64 s[58:59], s[54:55], s[58:59]             // in0 && in1
_v_add_lshl_u32 v71, v67, v68, 0x3                 // scaleToBpe: accumulate d0 lower and *= bpe into Cin addr
v_cndmask_b32 v71, -1, v71, s[58:59]               // LDD clip if OOB. offset
/* (d1,vc1,d0,vc0)=(1,0,0,0) */
_v_add_co_u32 v65, vcc, v65, 4                     // coord1.1: coord1Vgpr += d1*sg1*VW + vc1

/* Fix for UseInitialStridesCD, emitAddressSetupCode */
s_mul_i32 s54, s[sgprStrideC1J], 4                 // scale stride
_v_add_u32 v66, v66, s54                           // ROWINC- Move cinRowPtr to next row
s_mul_i32 s54, s[sgprStrideD1J], 4                 // scale stride
_v_add_u32 v67, v67, s54                           // Move coutRowPtr to next row
v_cmp_lt_u32 s[54:55], v64, s[sgprSizeI]           // coord0 < size0
v_cmp_lt_u32 s[58:59], v65, s[sgprSizeJ]           // coord1 < size1
s_and_b64 s[58:59], s[54:55], s[58:59]             // in0 && in1
_v_add_lshl_u32 v76, v67, v64, 0x3                 // scaleToBpe: accumulate d0 lower and *= bpe into Cin addr
v_cndmask_b32 v76, -1, v76, s[58:59]               // LDD clip if OOB. offset
/* (d1,vc1,d0,vc0)=(1,0,0,1) */
_v_add_co_u32 v68, vcc, v64, 1                     // coord0.1: coord0 += d0*sg0*VW + vc0
v_cmp_lt_u32 s[54:55], v68, s[sgprSizeI]           // coord0 < size0
v_cmp_lt_u32 s[58:59], v65, s[sgprSizeJ]           // coord1 < size1
s_and_b64 s[58:59], s[54:55], s[58:59]             // in0 && in1
_v_add_lshl_u32 v77, v67, v68, 0x3                 // scaleToBpe: accumulate d0 lower and *= bpe into Cin addr
v_cndmask_b32 v77, -1, v77, s[58:59]               // LDD clip if OOB. offset

/* rC *= alpha batchElements=[(0, 0, 0, 0), (0, 0, 0, 1), (1, 0, 0, 0), (1, 0, 0, 1)] */
v_mul_f64 v[vgprValuC+72:vgprValuC+72+1], s[sgprAlpha:sgprAlpha+1], v[vgprValuC+0:vgprValuC+0+1] // Multiply MI out reg with alpha
v_mul_f64 v[vgprValuC+74:vgprValuC+74+1], s[sgprAlpha:sgprAlpha+1], v[vgprValuC+8:vgprValuC+8+1] // Multiply MI out reg with alpha
v_mul_f64 v[vgprValuC+78:vgprValuC+78+1], s[sgprAlpha:sgprAlpha+1], v[vgprValuC+2:vgprValuC+2+1] // Multiply MI out reg with alpha
v_mul_f64 v[vgprValuC+80:vgprValuC+80+1], s[sgprAlpha:sgprAlpha+1], v[vgprValuC+10:vgprValuC+10+1] // Multiply MI out reg with alpha

/* apply mask, calc new C and issue writes */
_buffer_store_b64 v[72:73], v70, s[sgprSrdD:sgprSrdD+3], 0, offen, offset:0,  sc0 sc1 // store D
_buffer_store_b64 v[74:75], v71, s[sgprSrdD:sgprSrdD+3], 0, offen, offset:0,  sc0 sc1 // store D
_buffer_store_b64 v[78:79], v76, s[sgprSrdD:sgprSrdD+3], 0, offen, offset:0,  sc0 sc1 // store D
_buffer_store_b64 v[80:81], v77, s[sgprSrdD:sgprSrdD+3], 0, offen, offset:0,  sc0 sc1 // store D
s_nop 0                                            // 1 wait state required when next inst writes vgprs held by previous dwordx4 store inst
/* optSingleColVgpr=0 optSharedColVgpr=0 optSGPRUsage=BufferLoad_Edge_Mask optSrdIncForRow=0 */

/******************************************/
/* Global Write Alpha Edge Batch #1 (d1,d0,vc1,vc0) = */
/*    (2,0,0,0:vw1); (2,0,0,1:vw1); (3,0,0,0:vw1); (3,0,0,1:vw1) */
/******************************************/

/* calc coords, apply mask, and issue loads (if necessary) */
/* (d1,vc1,d0,vc0)=(2,0,0,0) */
_v_add_co_u32 v65, vcc, v65, 4                     // coord1.1: coord1Vgpr += d1*sg1*VW + vc1

/* Fix for UseInitialStridesCD, emitAddressSetupCode */
s_mul_i32 s54, s[sgprStrideC1J], 4                 // scale stride
_v_add_u32 v66, v66, s54                           // ROWINC- Move cinRowPtr to next row
s_mul_i32 s54, s[sgprStrideD1J], 4                 // scale stride
_v_add_u32 v67, v67, s54                           // Move coutRowPtr to next row
v_cmp_lt_u32 s[54:55], v64, s[sgprSizeI]           // coord0 < size0
v_cmp_lt_u32 s[58:59], v65, s[sgprSizeJ]           // coord1 < size1
s_and_b64 s[58:59], s[54:55], s[58:59]             // in0 && in1
_v_add_lshl_u32 v70, v67, v64, 0x3                 // scaleToBpe: accumulate d0 lower and *= bpe into Cin addr
v_cndmask_b32 v70, -1, v70, s[58:59]               // LDD clip if OOB. offset
/* (d1,vc1,d0,vc0)=(2,0,0,1) */
_v_add_co_u32 v68, vcc, v64, 1                     // coord0.1: coord0 += d0*sg0*VW + vc0
v_cmp_lt_u32 s[54:55], v68, s[sgprSizeI]           // coord0 < size0
v_cmp_lt_u32 s[58:59], v65, s[sgprSizeJ]           // coord1 < size1
s_and_b64 s[58:59], s[54:55], s[58:59]             // in0 && in1
_v_add_lshl_u32 v71, v67, v68, 0x3                 // scaleToBpe: accumulate d0 lower and *= bpe into Cin addr
v_cndmask_b32 v71, -1, v71, s[58:59]               // LDD clip if OOB. offset
/* (d1,vc1,d0,vc0)=(3,0,0,0) */
_v_add_co_u32 v65, vcc, v65, 4                     // coord1.1: coord1Vgpr += d1*sg1*VW + vc1

/* Fix for UseInitialStridesCD, emitAddressSetupCode */
s_mul_i32 s54, s[sgprStrideC1J], 4                 // scale stride
_v_add_u32 v66, v66, s54                           // ROWINC- Move cinRowPtr to next row
s_mul_i32 s54, s[sgprStrideD1J], 4                 // scale stride
_v_add_u32 v67, v67, s54                           // Move coutRowPtr to next row
v_cmp_lt_u32 s[54:55], v64, s[sgprSizeI]           // coord0 < size0
v_cmp_lt_u32 s[58:59], v65, s[sgprSizeJ]           // coord1 < size1
s_and_b64 s[58:59], s[54:55], s[58:59]             // in0 && in1
_v_add_lshl_u32 v76, v67, v64, 0x3                 // scaleToBpe: accumulate d0 lower and *= bpe into Cin addr
v_cndmask_b32 v76, -1, v76, s[58:59]               // LDD clip if OOB. offset
/* (d1,vc1,d0,vc0)=(3,0,0,1) */
_v_add_co_u32 v68, vcc, v64, 1                     // coord0.1: coord0 += d0*sg0*VW + vc0
v_cmp_lt_u32 s[54:55], v68, s[sgprSizeI]           // coord0 < size0
v_cmp_lt_u32 s[58:59], v65, s[sgprSizeJ]           // coord1 < size1
s_and_b64 s[58:59], s[54:55], s[58:59]             // in0 && in1
_v_add_lshl_u32 v77, v67, v68, 0x3                 // scaleToBpe: accumulate d0 lower and *= bpe into Cin addr
v_cndmask_b32 v77, -1, v77, s[58:59]               // LDD clip if OOB. offset

/* rC *= alpha batchElements=[(2, 0, 0, 0), (2, 0, 0, 1), (3, 0, 0, 0), (3, 0, 0, 1)] */
v_mul_f64 v[vgprValuC+72:vgprValuC+72+1], s[sgprAlpha:sgprAlpha+1], v[vgprValuC+4:vgprValuC+4+1] // Multiply MI out reg with alpha
v_mul_f64 v[vgprValuC+74:vgprValuC+74+1], s[sgprAlpha:sgprAlpha+1], v[vgprValuC+12:vgprValuC+12+1] // Multiply MI out reg with alpha
v_mul_f64 v[vgprValuC+78:vgprValuC+78+1], s[sgprAlpha:sgprAlpha+1], v[vgprValuC+6:vgprValuC+6+1] // Multiply MI out reg with alpha
v_mul_f64 v[vgprValuC+80:vgprValuC+80+1], s[sgprAlpha:sgprAlpha+1], v[vgprValuC+14:vgprValuC+14+1] // Multiply MI out reg with alpha

/* apply mask, calc new C and issue writes */
_buffer_store_b64 v[72:73], v70, s[sgprSrdD:sgprSrdD+3], 0, offen, offset:0,  sc0 sc1 // store D
_buffer_store_b64 v[74:75], v71, s[sgprSrdD:sgprSrdD+3], 0, offen, offset:0,  sc0 sc1 // store D
_buffer_store_b64 v[78:79], v76, s[sgprSrdD:sgprSrdD+3], 0, offen, offset:0,  sc0 sc1 // store D
_buffer_store_b64 v[80:81], v77, s[sgprSrdD:sgprSrdD+3], 0, offen, offset:0,  sc0 sc1 // store D
s_nop 0                                            // 1 wait state required when next inst writes vgprs held by previous dwordx4 store inst
/* optSingleColVgpr=0 optSharedColVgpr=0 optSGPRUsage=BufferLoad_Edge_Mask optSrdIncForRow=0 */

/******************************************/
/* Global Write Alpha Edge Batch #2 (d1,d0,vc1,vc0) = */
/*    (4,0,0,0:vw1); (4,0,0,1:vw1); (5,0,0,0:vw1); (5,0,0,1:vw1) */
/******************************************/

/* calc coords, apply mask, and issue loads (if necessary) */
/* (d1,vc1,d0,vc0)=(4,0,0,0) */
_v_add_co_u32 v65, vcc, v65, 4                     // coord1.1: coord1Vgpr += d1*sg1*VW + vc1

/* Fix for UseInitialStridesCD, emitAddressSetupCode */
s_mul_i32 s54, s[sgprStrideC1J], 4                 // scale stride
_v_add_u32 v66, v66, s54                           // ROWINC- Move cinRowPtr to next row
s_mul_i32 s54, s[sgprStrideD1J], 4                 // scale stride
_v_add_u32 v67, v67, s54                           // Move coutRowPtr to next row
	;; [unrolled: 61-line block ×7, first 2 shown]
v_cmp_lt_u32 s[54:55], v64, s[sgprSizeI]           // coord0 < size0
v_cmp_lt_u32 s[58:59], v65, s[sgprSizeJ]           // coord1 < size1
s_and_b64 s[58:59], s[54:55], s[58:59]             // in0 && in1
_v_add_lshl_u32 v70, v67, v64, 0x3                 // scaleToBpe: accumulate d0 lower and *= bpe into Cin addr
v_cndmask_b32 v70, -1, v70, s[58:59]               // LDD clip if OOB. offset
/* (d1,vc1,d0,vc0)=(14,0,0,1) */
_v_add_co_u32 v68, vcc, v64, 1                     // coord0.1: coord0 += d0*sg0*VW + vc0
v_cmp_lt_u32 s[54:55], v68, s[sgprSizeI]           // coord0 < size0
v_cmp_lt_u32 s[58:59], v65, s[sgprSizeJ]           // coord1 < size1
s_and_b64 s[58:59], s[54:55], s[58:59]             // in0 && in1
_v_add_lshl_u32 v71, v67, v68, 0x3                 // scaleToBpe: accumulate d0 lower and *= bpe into Cin addr
v_cndmask_b32 v71, -1, v71, s[58:59]               // LDD clip if OOB. offset
/* (d1,vc1,d0,vc0)=(15,0,0,0) */
_v_add_co_u32 v65, vcc, v65, 4                     // coord1.1: coord1Vgpr += d1*sg1*VW + vc1

/* Fix for UseInitialStridesCD, emitAddressSetupCode */
s_mul_i32 s54, s[sgprStrideC1J], 4                 // scale stride
_v_add_u32 v66, v66, s54                           // ROWINC- Move cinRowPtr to next row
s_mul_i32 s54, s[sgprStrideD1J], 4                 // scale stride
_v_add_u32 v67, v67, s54                           // Move coutRowPtr to next row
v_cmp_lt_u32 s[54:55], v64, s[sgprSizeI]           // coord0 < size0
v_cmp_lt_u32 s[58:59], v65, s[sgprSizeJ]           // coord1 < size1
s_and_b64 s[58:59], s[54:55], s[58:59]             // in0 && in1
_v_add_lshl_u32 v76, v67, v64, 0x3                 // scaleToBpe: accumulate d0 lower and *= bpe into Cin addr
v_cndmask_b32 v76, -1, v76, s[58:59]               // LDD clip if OOB. offset
/* (d1,vc1,d0,vc0)=(15,0,0,1) */
_v_add_co_u32 v68, vcc, v64, 1                     // coord0.1: coord0 += d0*sg0*VW + vc0
v_cmp_lt_u32 s[54:55], v68, s[sgprSizeI]           // coord0 < size0
v_cmp_lt_u32 s[58:59], v65, s[sgprSizeJ]           // coord1 < size1
s_and_b64 s[58:59], s[54:55], s[58:59]             // in0 && in1
_v_add_lshl_u32 v77, v67, v68, 0x3                 // scaleToBpe: accumulate d0 lower and *= bpe into Cin addr
v_cndmask_b32 v77, -1, v77, s[58:59]               // LDD clip if OOB. offset

/* rC *= alpha batchElements=[(14, 0, 0, 0), (14, 0, 0, 1), (15, 0, 0, 0), (15, 0, 0, 1)] */
v_mul_f64 v[vgprValuC+72:vgprValuC+72+1], s[sgprAlpha:sgprAlpha+1], v[vgprValuC+52:vgprValuC+52+1] // Multiply MI out reg with alpha
v_mul_f64 v[vgprValuC+74:vgprValuC+74+1], s[sgprAlpha:sgprAlpha+1], v[vgprValuC+60:vgprValuC+60+1] // Multiply MI out reg with alpha
	;; [unrolled: 1-line block ×4, first 2 shown]

/* apply mask, calc new C and issue writes */
_buffer_store_b64 v[72:73], v70, s[sgprSrdD:sgprSrdD+3], 0, offen, offset:0,  sc0 sc1 // store D
_buffer_store_b64 v[74:75], v71, s[sgprSrdD:sgprSrdD+3], 0, offen, offset:0,  sc0 sc1 // store D
	;; [unrolled: 1-line block ×4, first 2 shown]
s_nop 0                                            // 1 wait state required when next inst writes vgprs held by previous dwordx4 store inst
s_branch label_GW_End_50                           // jump to end
GW_Beta_51:
s_and_b32 s32, 127, s[sgprSizeI]                   // s32 = s[sgprSizeI] % 128
s_add_u32 s33, -0x1, s[sgprNumWorkGroups0]         // 
s_cmp_ge_u32 s[sgprWorkGroup0], s33                // wg0 >= nwg0-1 ?
s_cselect_b32 s32, s32, 0                          // set rMT0
s_cmpk_gt_u32 s32, 0x0                             // rMT0 > 0
s_cbranch_scc1 GW_B1_E1_49                         // jump if edges required
s_and_b32 s32, 63, s[sgprSizeJ]                    // s32 = s[sgprSizeJ] % 64
s_add_u32 s33, -0x1, s[sgprNumWorkGroups1]         // 
s_cmp_ge_u32 s[sgprWorkGroup1], s33                // wg1 >= nwg1-1
s_cselect_b32 s32, s32, 0                          // set rMT1
s_cmpk_gt_u32 s32, 0x0                             // rMT1 > 0
s_cbranch_scc1 GW_B1_E1_49                         // jump if edges required
GW_B1_E0_46:

/* edge=0, allocate 2 sgpr. perBatchTmpS=2 perBatchMaskS=0 perElementMaskS=0 elementsPerBatch=4 */
/* optSingleColVgpr=1 optSharedColVgpr=0 optSGPRUsage=BufferLoad_Mask optSrdIncForRow=1 */

/******************************************/
/* Global Write Alpha Beta Batch #0 (d1,d0,vc1,vc0) = */
/*    (0,0,0,0:vw2); (1,0,0,0:vw2); (2,0,0,0:vw2); (3,0,0,0:vw2) */
/******************************************/

/* calc coords, apply mask, and issue loads (if necessary) */
/* (d1,vc1,d0,vc0)=(0,0,0,0) */
_v_add_lshl_u32 v71, v66, v64, 0x3                 // optSingleColVgpr scaleToBpe: sharedAddrVgpr <- cinRowPtr + coord0, scaled by BPE. BSHERE:coord0=64, coord0Vgpr=64
_buffer_load_b128 v[72:75], v71, s[sgprSrdC:sgprSrdC+3], 0, offen offset:0,  sc0 sc1 // load C for beta calc
/* (d1,vc1,d0,vc0)=(1,0,0,0) */
s_mul_i32 s32, s[sgprStrideC1J], 32                // scale StrideC *= numRows(4) * bpe
s_add_u32  s[sgprSrdC+0], s[sgprSrdC+0], s32       // incToNextRow: gra SRD += inc(lower)
s_addc_u32  s[sgprSrdC+1], s[sgprSrdC+1], 0        // incToNextRow: gra SRD += inc(upper)
_buffer_load_b128 v[80:83], v71, s[sgprSrdC:sgprSrdC+3], 0, offen offset:0,  sc0 sc1 // load C for beta calc
/* (d1,vc1,d0,vc0)=(2,0,0,0) */
s_mul_i32 s32, s[sgprStrideC1J], 32                // scale StrideC *= numRows(4) * bpe
s_add_u32  s[sgprSrdC+0], s[sgprSrdC+0], s32       // incToNextRow: gra SRD += inc(lower)
s_addc_u32  s[sgprSrdC+1], s[sgprSrdC+1], 0        // incToNextRow: gra SRD += inc(upper)
_buffer_load_b128 v[88:91], v71, s[sgprSrdC:sgprSrdC+3], 0, offen offset:0,  sc0 sc1 // load C for beta calc
/* (d1,vc1,d0,vc0)=(3,0,0,0) */
s_mul_i32 s32, s[sgprStrideC1J], 32                // scale StrideC *= numRows(4) * bpe
s_add_u32  s[sgprSrdC+0], s[sgprSrdC+0], s32       // incToNextRow: gra SRD += inc(lower)
s_addc_u32  s[sgprSrdC+1], s[sgprSrdC+1], 0        // incToNextRow: gra SRD += inc(upper)
_buffer_load_b128 v[96:99], v71, s[sgprSrdC:sgprSrdC+3], 0, offen offset:0,  sc0 sc1 // load C for beta calc
_v_add_lshl_u32 v70, v67, v64, 0x3                 // optSingleColVgpr scaleToBpe: sharedAddrVgpr <- cinRowPtr + coord0, scaled by BPE. BSHERE:coord0=64, coord0Vgpr=64

/* rC *= alpha batchElements=[(0, 0, 0, 0), (1, 0, 0, 0), (2, 0, 0, 0), (3, 0, 0, 0)] */
v_mul_f64 v[vgprValuC+76:vgprValuC+76+1], s[sgprAlpha:sgprAlpha+1], v[vgprValuC+0:vgprValuC+0+1] // Multiply MI out reg with alpha
v_mul_f64 v[vgprValuC+78:vgprValuC+78+1], s[sgprAlpha:sgprAlpha+1], v[vgprValuC+8:vgprValuC+8+1] // Multiply MI out reg with alpha
v_mul_f64 v[vgprValuC+84:vgprValuC+84+1], s[sgprAlpha:sgprAlpha+1], v[vgprValuC+2:vgprValuC+2+1] // Multiply MI out reg with alpha
v_mul_f64 v[vgprValuC+86:vgprValuC+86+1], s[sgprAlpha:sgprAlpha+1], v[vgprValuC+10:vgprValuC+10+1] // Multiply MI out reg with alpha
v_mul_f64 v[vgprValuC+92:vgprValuC+92+1], s[sgprAlpha:sgprAlpha+1], v[vgprValuC+4:vgprValuC+4+1] // Multiply MI out reg with alpha
v_mul_f64 v[vgprValuC+94:vgprValuC+94+1], s[sgprAlpha:sgprAlpha+1], v[vgprValuC+12:vgprValuC+12+1] // Multiply MI out reg with alpha
v_mul_f64 v[vgprValuC+100:vgprValuC+100+1], s[sgprAlpha:sgprAlpha+1], v[vgprValuC+6:vgprValuC+6+1] // Multiply MI out reg with alpha
v_mul_f64 v[vgprValuC+102:vgprValuC+102+1], s[sgprAlpha:sgprAlpha+1], v[vgprValuC+14:vgprValuC+14+1] // Multiply MI out reg with alpha

/* apply mask, calc new C and issue writes */

s_waitcnt vmcnt(3)                                 // wait C (interleaved) 3 = 4 - 0 + 0 - 1
v_fma_f64 v[vgprValuC+76:vgprValuC+76+1], v[72:73], s[sgprBeta:sgprBeta+1], v[vgprValuC+76:vgprValuC+76+1] // finalSum = sum*alpha + C*beta
v_fma_f64 v[vgprValuC+78:vgprValuC+78+1], v[74:75], s[sgprBeta:sgprBeta+1], v[vgprValuC+78:vgprValuC+78+1] // finalSum = sum*alpha + C*beta
_buffer_store_b128 v[76:79], v70, s[sgprSrdD:sgprSrdD+3], 0, offen, offset:0,  sc0 sc1 // store D

s_waitcnt vmcnt(3)                                 // wait C (interleaved) 3 = 4 - 1 + 1 - 1
v_fma_f64 v[vgprValuC+84:vgprValuC+84+1], v[80:81], s[sgprBeta:sgprBeta+1], v[vgprValuC+84:vgprValuC+84+1] // finalSum = sum*alpha + C*beta
v_fma_f64 v[vgprValuC+86:vgprValuC+86+1], v[82:83], s[sgprBeta:sgprBeta+1], v[vgprValuC+86:vgprValuC+86+1] // finalSum = sum*alpha + C*beta
s_mul_i32 s32, s[sgprStrideD1J], 32                // scale StrideD *= numRows(4) * bpe
s_add_u32  s[sgprSrdD+0], s[sgprSrdD+0], s32       // incToNextRow: gra SRD += inc(lower)
s_addc_u32  s[sgprSrdD+1], s[sgprSrdD+1], 0        // incToNextRow: gra SRD += inc(upper)
_buffer_store_b128 v[84:87], v70, s[sgprSrdD:sgprSrdD+3], 0, offen, offset:0,  sc0 sc1 // store D

s_waitcnt vmcnt(3)                                 // wait C (interleaved) 3 = 4 - 2 + 2 - 1
v_fma_f64 v[vgprValuC+92:vgprValuC+92+1], v[88:89], s[sgprBeta:sgprBeta+1], v[vgprValuC+92:vgprValuC+92+1] // finalSum = sum*alpha + C*beta
v_fma_f64 v[vgprValuC+94:vgprValuC+94+1], v[90:91], s[sgprBeta:sgprBeta+1], v[vgprValuC+94:vgprValuC+94+1] // finalSum = sum*alpha + C*beta
s_mul_i32 s32, s[sgprStrideD1J], 32                // scale StrideD *= numRows(4) * bpe
s_add_u32  s[sgprSrdD+0], s[sgprSrdD+0], s32       // incToNextRow: gra SRD += inc(lower)
s_addc_u32  s[sgprSrdD+1], s[sgprSrdD+1], 0        // incToNextRow: gra SRD += inc(upper)
	;; [unrolled: 8-line block ×3, first 2 shown]
_buffer_store_b128 v[100:103], v70, s[sgprSrdD:sgprSrdD+3], 0, offen, offset:0,  sc0 sc1 // store D
s_nop 0                                            // 1 wait state required when next inst writes vgprs held by previous dwordx4 store inst
/* optSingleColVgpr=1 optSharedColVgpr=0 optSGPRUsage=BufferLoad_Mask optSrdIncForRow=1 */

/******************************************/
/* Global Write Alpha Beta Batch #1 (d1,d0,vc1,vc0) = */
/*    (4,0,0,0:vw2); (5,0,0,0:vw2); (6,0,0,0:vw2); (7,0,0,0:vw2) */
/******************************************/

/* calc coords, apply mask, and issue loads (if necessary) */
/* (d1,vc1,d0,vc0)=(4,0,0,0) */
s_mul_i32 s32, s[sgprStrideC1J], 32                // scale StrideC *= numRows(4) * bpe
s_add_u32  s[sgprSrdC+0], s[sgprSrdC+0], s32       // incToNextRow: gra SRD += inc(lower)
s_addc_u32  s[sgprSrdC+1], s[sgprSrdC+1], 0        // incToNextRow: gra SRD += inc(upper)
_buffer_load_b128 v[72:75], v71, s[sgprSrdC:sgprSrdC+3], 0, offen offset:0,  sc0 sc1 // load C for beta calc
/* (d1,vc1,d0,vc0)=(5,0,0,0) */
s_mul_i32 s32, s[sgprStrideC1J], 32                // scale StrideC *= numRows(4) * bpe
s_add_u32  s[sgprSrdC+0], s[sgprSrdC+0], s32       // incToNextRow: gra SRD += inc(lower)
s_addc_u32  s[sgprSrdC+1], s[sgprSrdC+1], 0        // incToNextRow: gra SRD += inc(upper)
_buffer_load_b128 v[80:83], v71, s[sgprSrdC:sgprSrdC+3], 0, offen offset:0,  sc0 sc1 // load C for beta calc
	;; [unrolled: 5-line block ×4, first 2 shown]

/* rC *= alpha batchElements=[(4, 0, 0, 0), (5, 0, 0, 0), (6, 0, 0, 0), (7, 0, 0, 0)] */
v_mul_f64 v[vgprValuC+76:vgprValuC+76+1], s[sgprAlpha:sgprAlpha+1], v[vgprValuC+16:vgprValuC+16+1] // Multiply MI out reg with alpha
v_mul_f64 v[vgprValuC+78:vgprValuC+78+1], s[sgprAlpha:sgprAlpha+1], v[vgprValuC+24:vgprValuC+24+1] // Multiply MI out reg with alpha
	;; [unrolled: 1-line block ×8, first 2 shown]

/* apply mask, calc new C and issue writes */

s_waitcnt vmcnt(3)                                 // wait C (interleaved) 3 = 4 - 0 + 0 - 1
v_fma_f64 v[vgprValuC+76:vgprValuC+76+1], v[72:73], s[sgprBeta:sgprBeta+1], v[vgprValuC+76:vgprValuC+76+1] // finalSum = sum*alpha + C*beta
v_fma_f64 v[vgprValuC+78:vgprValuC+78+1], v[74:75], s[sgprBeta:sgprBeta+1], v[vgprValuC+78:vgprValuC+78+1] // finalSum = sum*alpha + C*beta
s_mul_i32 s32, s[sgprStrideD1J], 32                // scale StrideD *= numRows(4) * bpe
s_add_u32  s[sgprSrdD+0], s[sgprSrdD+0], s32       // incToNextRow: gra SRD += inc(lower)
s_addc_u32  s[sgprSrdD+1], s[sgprSrdD+1], 0        // incToNextRow: gra SRD += inc(upper)
_buffer_store_b128 v[76:79], v70, s[sgprSrdD:sgprSrdD+3], 0, offen, offset:0,  sc0 sc1 // store D

s_waitcnt vmcnt(3)                                 // wait C (interleaved) 3 = 4 - 1 + 1 - 1
v_fma_f64 v[vgprValuC+84:vgprValuC+84+1], v[80:81], s[sgprBeta:sgprBeta+1], v[vgprValuC+84:vgprValuC+84+1] // finalSum = sum*alpha + C*beta
v_fma_f64 v[vgprValuC+86:vgprValuC+86+1], v[82:83], s[sgprBeta:sgprBeta+1], v[vgprValuC+86:vgprValuC+86+1] // finalSum = sum*alpha + C*beta
s_mul_i32 s32, s[sgprStrideD1J], 32                // scale StrideD *= numRows(4) * bpe
s_add_u32  s[sgprSrdD+0], s[sgprSrdD+0], s32       // incToNextRow: gra SRD += inc(lower)
s_addc_u32  s[sgprSrdD+1], s[sgprSrdD+1], 0        // incToNextRow: gra SRD += inc(upper)
_buffer_store_b128 v[84:87], v70, s[sgprSrdD:sgprSrdD+3], 0, offen, offset:0,  sc0 sc1 // store D
	;; [unrolled: 8-line block ×4, first 2 shown]
s_nop 0                                            // 1 wait state required when next inst writes vgprs held by previous dwordx4 store inst
/* optSingleColVgpr=1 optSharedColVgpr=0 optSGPRUsage=BufferLoad_Mask optSrdIncForRow=1 */

/******************************************/
/* Global Write Alpha Beta Batch #2 (d1,d0,vc1,vc0) = */
/*    (8,0,0,0:vw2); (9,0,0,0:vw2); (10,0,0,0:vw2); (11,0,0,0:vw2) */
/******************************************/

/* calc coords, apply mask, and issue loads (if necessary) */
/* (d1,vc1,d0,vc0)=(8,0,0,0) */
s_mul_i32 s32, s[sgprStrideC1J], 32                // scale StrideC *= numRows(4) * bpe
s_add_u32  s[sgprSrdC+0], s[sgprSrdC+0], s32       // incToNextRow: gra SRD += inc(lower)
s_addc_u32  s[sgprSrdC+1], s[sgprSrdC+1], 0        // incToNextRow: gra SRD += inc(upper)
_buffer_load_b128 v[72:75], v71, s[sgprSrdC:sgprSrdC+3], 0, offen offset:0,  sc0 sc1 // load C for beta calc
/* (d1,vc1,d0,vc0)=(9,0,0,0) */
s_mul_i32 s32, s[sgprStrideC1J], 32                // scale StrideC *= numRows(4) * bpe
s_add_u32  s[sgprSrdC+0], s[sgprSrdC+0], s32       // incToNextRow: gra SRD += inc(lower)
s_addc_u32  s[sgprSrdC+1], s[sgprSrdC+1], 0        // incToNextRow: gra SRD += inc(upper)
_buffer_load_b128 v[80:83], v71, s[sgprSrdC:sgprSrdC+3], 0, offen offset:0,  sc0 sc1 // load C for beta calc
	;; [unrolled: 5-line block ×4, first 2 shown]

/* rC *= alpha batchElements=[(8, 0, 0, 0), (9, 0, 0, 0), (10, 0, 0, 0), (11, 0, 0, 0)] */
v_mul_f64 v[vgprValuC+76:vgprValuC+76+1], s[sgprAlpha:sgprAlpha+1], v[vgprValuC+32:vgprValuC+32+1] // Multiply MI out reg with alpha
v_mul_f64 v[vgprValuC+78:vgprValuC+78+1], s[sgprAlpha:sgprAlpha+1], v[vgprValuC+40:vgprValuC+40+1] // Multiply MI out reg with alpha
	;; [unrolled: 1-line block ×8, first 2 shown]

/* apply mask, calc new C and issue writes */

s_waitcnt vmcnt(3)                                 // wait C (interleaved) 3 = 4 - 0 + 0 - 1
v_fma_f64 v[vgprValuC+76:vgprValuC+76+1], v[72:73], s[sgprBeta:sgprBeta+1], v[vgprValuC+76:vgprValuC+76+1] // finalSum = sum*alpha + C*beta
v_fma_f64 v[vgprValuC+78:vgprValuC+78+1], v[74:75], s[sgprBeta:sgprBeta+1], v[vgprValuC+78:vgprValuC+78+1] // finalSum = sum*alpha + C*beta
s_mul_i32 s32, s[sgprStrideD1J], 32                // scale StrideD *= numRows(4) * bpe
s_add_u32  s[sgprSrdD+0], s[sgprSrdD+0], s32       // incToNextRow: gra SRD += inc(lower)
s_addc_u32  s[sgprSrdD+1], s[sgprSrdD+1], 0        // incToNextRow: gra SRD += inc(upper)
_buffer_store_b128 v[76:79], v70, s[sgprSrdD:sgprSrdD+3], 0, offen, offset:0,  sc0 sc1 // store D

s_waitcnt vmcnt(3)                                 // wait C (interleaved) 3 = 4 - 1 + 1 - 1
v_fma_f64 v[vgprValuC+84:vgprValuC+84+1], v[80:81], s[sgprBeta:sgprBeta+1], v[vgprValuC+84:vgprValuC+84+1] // finalSum = sum*alpha + C*beta
v_fma_f64 v[vgprValuC+86:vgprValuC+86+1], v[82:83], s[sgprBeta:sgprBeta+1], v[vgprValuC+86:vgprValuC+86+1] // finalSum = sum*alpha + C*beta
s_mul_i32 s32, s[sgprStrideD1J], 32                // scale StrideD *= numRows(4) * bpe
s_add_u32  s[sgprSrdD+0], s[sgprSrdD+0], s32       // incToNextRow: gra SRD += inc(lower)
s_addc_u32  s[sgprSrdD+1], s[sgprSrdD+1], 0        // incToNextRow: gra SRD += inc(upper)
_buffer_store_b128 v[84:87], v70, s[sgprSrdD:sgprSrdD+3], 0, offen, offset:0,  sc0 sc1 // store D
	;; [unrolled: 8-line block ×4, first 2 shown]
s_nop 0                                            // 1 wait state required when next inst writes vgprs held by previous dwordx4 store inst
/* optSingleColVgpr=1 optSharedColVgpr=0 optSGPRUsage=BufferLoad_Mask optSrdIncForRow=1 */

/******************************************/
/* Global Write Alpha Beta Batch #3 (d1,d0,vc1,vc0) = */
/*    (12,0,0,0:vw2); (13,0,0,0:vw2); (14,0,0,0:vw2); (15,0,0,0:vw2) */
/******************************************/

/* calc coords, apply mask, and issue loads (if necessary) */
/* (d1,vc1,d0,vc0)=(12,0,0,0) */
s_mul_i32 s32, s[sgprStrideC1J], 32                // scale StrideC *= numRows(4) * bpe
s_add_u32  s[sgprSrdC+0], s[sgprSrdC+0], s32       // incToNextRow: gra SRD += inc(lower)
s_addc_u32  s[sgprSrdC+1], s[sgprSrdC+1], 0        // incToNextRow: gra SRD += inc(upper)
_buffer_load_b128 v[72:75], v71, s[sgprSrdC:sgprSrdC+3], 0, offen offset:0,  sc0 sc1 // load C for beta calc
/* (d1,vc1,d0,vc0)=(13,0,0,0) */
s_mul_i32 s32, s[sgprStrideC1J], 32                // scale StrideC *= numRows(4) * bpe
s_add_u32  s[sgprSrdC+0], s[sgprSrdC+0], s32       // incToNextRow: gra SRD += inc(lower)
s_addc_u32  s[sgprSrdC+1], s[sgprSrdC+1], 0        // incToNextRow: gra SRD += inc(upper)
_buffer_load_b128 v[80:83], v71, s[sgprSrdC:sgprSrdC+3], 0, offen offset:0,  sc0 sc1 // load C for beta calc
	;; [unrolled: 5-line block ×4, first 2 shown]

/* rC *= alpha batchElements=[(12, 0, 0, 0), (13, 0, 0, 0), (14, 0, 0, 0), (15, 0, 0, 0)] */
v_mul_f64 v[vgprValuC+76:vgprValuC+76+1], s[sgprAlpha:sgprAlpha+1], v[vgprValuC+48:vgprValuC+48+1] // Multiply MI out reg with alpha
v_mul_f64 v[vgprValuC+78:vgprValuC+78+1], s[sgprAlpha:sgprAlpha+1], v[vgprValuC+56:vgprValuC+56+1] // Multiply MI out reg with alpha
	;; [unrolled: 1-line block ×8, first 2 shown]

/* apply mask, calc new C and issue writes */

s_waitcnt vmcnt(3)                                 // wait C (interleaved) 3 = 4 - 0 + 0 - 1
v_fma_f64 v[vgprValuC+76:vgprValuC+76+1], v[72:73], s[sgprBeta:sgprBeta+1], v[vgprValuC+76:vgprValuC+76+1] // finalSum = sum*alpha + C*beta
v_fma_f64 v[vgprValuC+78:vgprValuC+78+1], v[74:75], s[sgprBeta:sgprBeta+1], v[vgprValuC+78:vgprValuC+78+1] // finalSum = sum*alpha + C*beta
s_mul_i32 s32, s[sgprStrideD1J], 32                // scale StrideD *= numRows(4) * bpe
s_add_u32  s[sgprSrdD+0], s[sgprSrdD+0], s32       // incToNextRow: gra SRD += inc(lower)
s_addc_u32  s[sgprSrdD+1], s[sgprSrdD+1], 0        // incToNextRow: gra SRD += inc(upper)
_buffer_store_b128 v[76:79], v70, s[sgprSrdD:sgprSrdD+3], 0, offen, offset:0,  sc0 sc1 // store D

s_waitcnt vmcnt(3)                                 // wait C (interleaved) 3 = 4 - 1 + 1 - 1
v_fma_f64 v[vgprValuC+84:vgprValuC+84+1], v[80:81], s[sgprBeta:sgprBeta+1], v[vgprValuC+84:vgprValuC+84+1] // finalSum = sum*alpha + C*beta
v_fma_f64 v[vgprValuC+86:vgprValuC+86+1], v[82:83], s[sgprBeta:sgprBeta+1], v[vgprValuC+86:vgprValuC+86+1] // finalSum = sum*alpha + C*beta
s_mul_i32 s32, s[sgprStrideD1J], 32                // scale StrideD *= numRows(4) * bpe
s_add_u32  s[sgprSrdD+0], s[sgprSrdD+0], s32       // incToNextRow: gra SRD += inc(lower)
s_addc_u32  s[sgprSrdD+1], s[sgprSrdD+1], 0        // incToNextRow: gra SRD += inc(upper)
_buffer_store_b128 v[84:87], v70, s[sgprSrdD:sgprSrdD+3], 0, offen, offset:0,  sc0 sc1 // store D
	;; [unrolled: 8-line block ×4, first 2 shown]
s_nop 0                                            // 1 wait state required when next inst writes vgprs held by previous dwordx4 store inst
s_branch label_GW_End_50                           // jump to end
GW_B1_E1_49:

/* edge=1, allocate 6 sgpr. perBatchTmpS=4 perBatchMaskS=2 perElementMaskS=0 elementsPerBatch=4 */
/* optSingleColVgpr=0 optSharedColVgpr=0 optSGPRUsage=BufferLoad_Edge_Mask optSrdIncForRow=0 */

/******************************************/
/* Global Write Alpha Beta Edge Batch #0 (d1,d0,vc1,vc0) = */
/*    (0,0,0,0:vw1); (0,0,0,1:vw1); (1,0,0,0:vw1); (1,0,0,1:vw1) */
/******************************************/

/* calc coords, apply mask, and issue loads (if necessary) */
/* (d1,vc1,d0,vc0)=(0,0,0,0) */
v_cmp_lt_u32 s[54:55], v64, s[sgprSizeI]           // coord0 < size0
v_cmp_lt_u32 s[58:59], v65, s[sgprSizeJ]           // coord1 < size1
s_and_b64 s[58:59], s[54:55], s[58:59]             // in0 && in1
_v_add_lshl_u32 v70, v66, v64, 0x3                 // scaleToBpe: accumulate d0 lower and *= bpe into Cin addr
v_cndmask_b32 v70, -1, v70, s[58:59]               // LDC clip if OOB. offset
_buffer_load_b64 v[72:73], v70, s[sgprSrdC:sgprSrdC+3], 0, offen offset:0,  sc0 sc1 // load C for beta calc
_v_add_lshl_u32 v70, v67, v64, 0x3                 // scaleToBpe: accumulate d0 lower and *= bpe into Cin addr
v_cndmask_b32 v70, -1, v70, s[58:59]               // LDD clip if OOB. offset
/* (d1,vc1,d0,vc0)=(0,0,0,1) */
_v_add_co_u32 v68, vcc, v64, 1                     // coord0.1: coord0 += d0*sg0*VW + vc0
v_cmp_lt_u32 s[54:55], v68, s[sgprSizeI]           // coord0 < size0
v_cmp_lt_u32 s[58:59], v65, s[sgprSizeJ]           // coord1 < size1
s_and_b64 s[58:59], s[54:55], s[58:59]             // in0 && in1
_v_add_lshl_u32 v71, v66, v68, 0x3                 // scaleToBpe: accumulate d0 lower and *= bpe into Cin addr
v_cndmask_b32 v71, -1, v71, s[58:59]               // LDC clip if OOB. offset
_buffer_load_b64 v[76:77], v71, s[sgprSrdC:sgprSrdC+3], 0, offen offset:0,  sc0 sc1 // load C for beta calc
_v_add_lshl_u32 v71, v67, v68, 0x3                 // scaleToBpe: accumulate d0 lower and *= bpe into Cin addr
v_cndmask_b32 v71, -1, v71, s[58:59]               // LDD clip if OOB. offset
/* (d1,vc1,d0,vc0)=(1,0,0,0) */
_v_add_co_u32 v65, vcc, v65, 4                     // coord1.1: coord1Vgpr += d1*sg1*VW + vc1

/* Fix for UseInitialStridesCD, emitAddressSetupCode */
s_mul_i32 s54, s[sgprStrideC1J], 4                 // scale stride
_v_add_u32 v66, v66, s54                           // ROWINC- Move cinRowPtr to next row
s_mul_i32 s54, s[sgprStrideD1J], 4                 // scale stride
_v_add_u32 v67, v67, s54                           // Move coutRowPtr to next row
v_cmp_lt_u32 s[54:55], v64, s[sgprSizeI]           // coord0 < size0
v_cmp_lt_u32 s[58:59], v65, s[sgprSizeJ]           // coord1 < size1
s_and_b64 s[58:59], s[54:55], s[58:59]             // in0 && in1
_v_add_lshl_u32 v80, v66, v64, 0x3                 // scaleToBpe: accumulate d0 lower and *= bpe into Cin addr
v_cndmask_b32 v80, -1, v80, s[58:59]               // LDC clip if OOB. offset
_buffer_load_b64 v[82:83], v80, s[sgprSrdC:sgprSrdC+3], 0, offen offset:0,  sc0 sc1 // load C for beta calc
_v_add_lshl_u32 v80, v67, v64, 0x3                 // scaleToBpe: accumulate d0 lower and *= bpe into Cin addr
v_cndmask_b32 v80, -1, v80, s[58:59]               // LDD clip if OOB. offset
/* (d1,vc1,d0,vc0)=(1,0,0,1) */
_v_add_co_u32 v68, vcc, v64, 1                     // coord0.1: coord0 += d0*sg0*VW + vc0
v_cmp_lt_u32 s[54:55], v68, s[sgprSizeI]           // coord0 < size0
v_cmp_lt_u32 s[58:59], v65, s[sgprSizeJ]           // coord1 < size1
s_and_b64 s[58:59], s[54:55], s[58:59]             // in0 && in1
_v_add_lshl_u32 v81, v66, v68, 0x3                 // scaleToBpe: accumulate d0 lower and *= bpe into Cin addr
v_cndmask_b32 v81, -1, v81, s[58:59]               // LDC clip if OOB. offset
_buffer_load_b64 v[86:87], v81, s[sgprSrdC:sgprSrdC+3], 0, offen offset:0,  sc0 sc1 // load C for beta calc
_v_add_lshl_u32 v81, v67, v68, 0x3                 // scaleToBpe: accumulate d0 lower and *= bpe into Cin addr
v_cndmask_b32 v81, -1, v81, s[58:59]               // LDD clip if OOB. offset

/* rC *= alpha batchElements=[(0, 0, 0, 0), (0, 0, 0, 1), (1, 0, 0, 0), (1, 0, 0, 1)] */
v_mul_f64 v[vgprValuC+74:vgprValuC+74+1], s[sgprAlpha:sgprAlpha+1], v[vgprValuC+0:vgprValuC+0+1] // Multiply MI out reg with alpha
v_mul_f64 v[vgprValuC+78:vgprValuC+78+1], s[sgprAlpha:sgprAlpha+1], v[vgprValuC+8:vgprValuC+8+1] // Multiply MI out reg with alpha
	;; [unrolled: 1-line block ×4, first 2 shown]
s_waitcnt vmcnt(0)                                 // wait C

/* apply mask, calc new C and issue writes */
v_fma_f64 v[vgprValuC+74:vgprValuC+74+1], v[72:73], s[sgprBeta:sgprBeta+1], v[vgprValuC+74:vgprValuC+74+1] // finalSum = sum*alpha + C*beta
_buffer_store_b64 v[74:75], v70, s[sgprSrdD:sgprSrdD+3], 0, offen, offset:0,  sc0 sc1 // store D
v_fma_f64 v[vgprValuC+78:vgprValuC+78+1], v[76:77], s[sgprBeta:sgprBeta+1], v[vgprValuC+78:vgprValuC+78+1] // finalSum = sum*alpha + C*beta
_buffer_store_b64 v[78:79], v71, s[sgprSrdD:sgprSrdD+3], 0, offen, offset:0,  sc0 sc1 // store D
	;; [unrolled: 2-line block ×4, first 2 shown]
s_nop 0                                            // 1 wait state required when next inst writes vgprs held by previous dwordx4 store inst
/* optSingleColVgpr=0 optSharedColVgpr=0 optSGPRUsage=BufferLoad_Edge_Mask optSrdIncForRow=0 */

/******************************************/
/* Global Write Alpha Beta Edge Batch #1 (d1,d0,vc1,vc0) = */
/*    (2,0,0,0:vw1); (2,0,0,1:vw1); (3,0,0,0:vw1); (3,0,0,1:vw1) */
/******************************************/

/* calc coords, apply mask, and issue loads (if necessary) */
/* (d1,vc1,d0,vc0)=(2,0,0,0) */
_v_add_co_u32 v65, vcc, v65, 4                     // coord1.1: coord1Vgpr += d1*sg1*VW + vc1

/* Fix for UseInitialStridesCD, emitAddressSetupCode */
s_mul_i32 s54, s[sgprStrideC1J], 4                 // scale stride
_v_add_u32 v66, v66, s54                           // ROWINC- Move cinRowPtr to next row
s_mul_i32 s54, s[sgprStrideD1J], 4                 // scale stride
_v_add_u32 v67, v67, s54                           // Move coutRowPtr to next row
v_cmp_lt_u32 s[54:55], v64, s[sgprSizeI]           // coord0 < size0
v_cmp_lt_u32 s[58:59], v65, s[sgprSizeJ]           // coord1 < size1
s_and_b64 s[58:59], s[54:55], s[58:59]             // in0 && in1
_v_add_lshl_u32 v70, v66, v64, 0x3                 // scaleToBpe: accumulate d0 lower and *= bpe into Cin addr
v_cndmask_b32 v70, -1, v70, s[58:59]               // LDC clip if OOB. offset
_buffer_load_b64 v[72:73], v70, s[sgprSrdC:sgprSrdC+3], 0, offen offset:0,  sc0 sc1 // load C for beta calc
_v_add_lshl_u32 v70, v67, v64, 0x3                 // scaleToBpe: accumulate d0 lower and *= bpe into Cin addr
v_cndmask_b32 v70, -1, v70, s[58:59]               // LDD clip if OOB. offset
/* (d1,vc1,d0,vc0)=(2,0,0,1) */
_v_add_co_u32 v68, vcc, v64, 1                     // coord0.1: coord0 += d0*sg0*VW + vc0
v_cmp_lt_u32 s[54:55], v68, s[sgprSizeI]           // coord0 < size0
v_cmp_lt_u32 s[58:59], v65, s[sgprSizeJ]           // coord1 < size1
s_and_b64 s[58:59], s[54:55], s[58:59]             // in0 && in1
_v_add_lshl_u32 v71, v66, v68, 0x3                 // scaleToBpe: accumulate d0 lower and *= bpe into Cin addr
v_cndmask_b32 v71, -1, v71, s[58:59]               // LDC clip if OOB. offset
_buffer_load_b64 v[76:77], v71, s[sgprSrdC:sgprSrdC+3], 0, offen offset:0,  sc0 sc1 // load C for beta calc
_v_add_lshl_u32 v71, v67, v68, 0x3                 // scaleToBpe: accumulate d0 lower and *= bpe into Cin addr
v_cndmask_b32 v71, -1, v71, s[58:59]               // LDD clip if OOB. offset
/* (d1,vc1,d0,vc0)=(3,0,0,0) */
_v_add_co_u32 v65, vcc, v65, 4                     // coord1.1: coord1Vgpr += d1*sg1*VW + vc1

/* Fix for UseInitialStridesCD, emitAddressSetupCode */
s_mul_i32 s54, s[sgprStrideC1J], 4                 // scale stride
_v_add_u32 v66, v66, s54                           // ROWINC- Move cinRowPtr to next row
s_mul_i32 s54, s[sgprStrideD1J], 4                 // scale stride
_v_add_u32 v67, v67, s54                           // Move coutRowPtr to next row
v_cmp_lt_u32 s[54:55], v64, s[sgprSizeI]           // coord0 < size0
v_cmp_lt_u32 s[58:59], v65, s[sgprSizeJ]           // coord1 < size1
s_and_b64 s[58:59], s[54:55], s[58:59]             // in0 && in1
_v_add_lshl_u32 v80, v66, v64, 0x3                 // scaleToBpe: accumulate d0 lower and *= bpe into Cin addr
v_cndmask_b32 v80, -1, v80, s[58:59]               // LDC clip if OOB. offset
_buffer_load_b64 v[82:83], v80, s[sgprSrdC:sgprSrdC+3], 0, offen offset:0,  sc0 sc1 // load C for beta calc
_v_add_lshl_u32 v80, v67, v64, 0x3                 // scaleToBpe: accumulate d0 lower and *= bpe into Cin addr
v_cndmask_b32 v80, -1, v80, s[58:59]               // LDD clip if OOB. offset
/* (d1,vc1,d0,vc0)=(3,0,0,1) */
_v_add_co_u32 v68, vcc, v64, 1                     // coord0.1: coord0 += d0*sg0*VW + vc0
v_cmp_lt_u32 s[54:55], v68, s[sgprSizeI]           // coord0 < size0
v_cmp_lt_u32 s[58:59], v65, s[sgprSizeJ]           // coord1 < size1
s_and_b64 s[58:59], s[54:55], s[58:59]             // in0 && in1
_v_add_lshl_u32 v81, v66, v68, 0x3                 // scaleToBpe: accumulate d0 lower and *= bpe into Cin addr
v_cndmask_b32 v81, -1, v81, s[58:59]               // LDC clip if OOB. offset
_buffer_load_b64 v[86:87], v81, s[sgprSrdC:sgprSrdC+3], 0, offen offset:0,  sc0 sc1 // load C for beta calc
_v_add_lshl_u32 v81, v67, v68, 0x3                 // scaleToBpe: accumulate d0 lower and *= bpe into Cin addr
v_cndmask_b32 v81, -1, v81, s[58:59]               // LDD clip if OOB. offset

/* rC *= alpha batchElements=[(2, 0, 0, 0), (2, 0, 0, 1), (3, 0, 0, 0), (3, 0, 0, 1)] */
v_mul_f64 v[vgprValuC+74:vgprValuC+74+1], s[sgprAlpha:sgprAlpha+1], v[vgprValuC+4:vgprValuC+4+1] // Multiply MI out reg with alpha
v_mul_f64 v[vgprValuC+78:vgprValuC+78+1], s[sgprAlpha:sgprAlpha+1], v[vgprValuC+12:vgprValuC+12+1] // Multiply MI out reg with alpha
	;; [unrolled: 1-line block ×4, first 2 shown]
s_waitcnt vmcnt(0)                                 // wait C

/* apply mask, calc new C and issue writes */
v_fma_f64 v[vgprValuC+74:vgprValuC+74+1], v[72:73], s[sgprBeta:sgprBeta+1], v[vgprValuC+74:vgprValuC+74+1] // finalSum = sum*alpha + C*beta
_buffer_store_b64 v[74:75], v70, s[sgprSrdD:sgprSrdD+3], 0, offen, offset:0,  sc0 sc1 // store D
v_fma_f64 v[vgprValuC+78:vgprValuC+78+1], v[76:77], s[sgprBeta:sgprBeta+1], v[vgprValuC+78:vgprValuC+78+1] // finalSum = sum*alpha + C*beta
_buffer_store_b64 v[78:79], v71, s[sgprSrdD:sgprSrdD+3], 0, offen, offset:0,  sc0 sc1 // store D
	;; [unrolled: 2-line block ×4, first 2 shown]
s_nop 0                                            // 1 wait state required when next inst writes vgprs held by previous dwordx4 store inst
/* optSingleColVgpr=0 optSharedColVgpr=0 optSGPRUsage=BufferLoad_Edge_Mask optSrdIncForRow=0 */

/******************************************/
/* Global Write Alpha Beta Edge Batch #2 (d1,d0,vc1,vc0) = */
/*    (4,0,0,0:vw1); (4,0,0,1:vw1); (5,0,0,0:vw1); (5,0,0,1:vw1) */
/******************************************/

/* calc coords, apply mask, and issue loads (if necessary) */
/* (d1,vc1,d0,vc0)=(4,0,0,0) */
_v_add_co_u32 v65, vcc, v65, 4                     // coord1.1: coord1Vgpr += d1*sg1*VW + vc1

/* Fix for UseInitialStridesCD, emitAddressSetupCode */
s_mul_i32 s54, s[sgprStrideC1J], 4                 // scale stride
_v_add_u32 v66, v66, s54                           // ROWINC- Move cinRowPtr to next row
s_mul_i32 s54, s[sgprStrideD1J], 4                 // scale stride
_v_add_u32 v67, v67, s54                           // Move coutRowPtr to next row
v_cmp_lt_u32 s[54:55], v64, s[sgprSizeI]           // coord0 < size0
v_cmp_lt_u32 s[58:59], v65, s[sgprSizeJ]           // coord1 < size1
s_and_b64 s[58:59], s[54:55], s[58:59]             // in0 && in1
_v_add_lshl_u32 v70, v66, v64, 0x3                 // scaleToBpe: accumulate d0 lower and *= bpe into Cin addr
v_cndmask_b32 v70, -1, v70, s[58:59]               // LDC clip if OOB. offset
_buffer_load_b64 v[72:73], v70, s[sgprSrdC:sgprSrdC+3], 0, offen offset:0,  sc0 sc1 // load C for beta calc
_v_add_lshl_u32 v70, v67, v64, 0x3                 // scaleToBpe: accumulate d0 lower and *= bpe into Cin addr
v_cndmask_b32 v70, -1, v70, s[58:59]               // LDD clip if OOB. offset
/* (d1,vc1,d0,vc0)=(4,0,0,1) */
_v_add_co_u32 v68, vcc, v64, 1                     // coord0.1: coord0 += d0*sg0*VW + vc0
v_cmp_lt_u32 s[54:55], v68, s[sgprSizeI]           // coord0 < size0
v_cmp_lt_u32 s[58:59], v65, s[sgprSizeJ]           // coord1 < size1
s_and_b64 s[58:59], s[54:55], s[58:59]             // in0 && in1
_v_add_lshl_u32 v71, v66, v68, 0x3                 // scaleToBpe: accumulate d0 lower and *= bpe into Cin addr
v_cndmask_b32 v71, -1, v71, s[58:59]               // LDC clip if OOB. offset
_buffer_load_b64 v[76:77], v71, s[sgprSrdC:sgprSrdC+3], 0, offen offset:0,  sc0 sc1 // load C for beta calc
_v_add_lshl_u32 v71, v67, v68, 0x3                 // scaleToBpe: accumulate d0 lower and *= bpe into Cin addr
v_cndmask_b32 v71, -1, v71, s[58:59]               // LDD clip if OOB. offset
/* (d1,vc1,d0,vc0)=(5,0,0,0) */
_v_add_co_u32 v65, vcc, v65, 4                     // coord1.1: coord1Vgpr += d1*sg1*VW + vc1

/* Fix for UseInitialStridesCD, emitAddressSetupCode */
s_mul_i32 s54, s[sgprStrideC1J], 4                 // scale stride
_v_add_u32 v66, v66, s54                           // ROWINC- Move cinRowPtr to next row
s_mul_i32 s54, s[sgprStrideD1J], 4                 // scale stride
_v_add_u32 v67, v67, s54                           // Move coutRowPtr to next row
v_cmp_lt_u32 s[54:55], v64, s[sgprSizeI]           // coord0 < size0
v_cmp_lt_u32 s[58:59], v65, s[sgprSizeJ]           // coord1 < size1
s_and_b64 s[58:59], s[54:55], s[58:59]             // in0 && in1
_v_add_lshl_u32 v80, v66, v64, 0x3                 // scaleToBpe: accumulate d0 lower and *= bpe into Cin addr
v_cndmask_b32 v80, -1, v80, s[58:59]               // LDC clip if OOB. offset
_buffer_load_b64 v[82:83], v80, s[sgprSrdC:sgprSrdC+3], 0, offen offset:0,  sc0 sc1 // load C for beta calc
_v_add_lshl_u32 v80, v67, v64, 0x3                 // scaleToBpe: accumulate d0 lower and *= bpe into Cin addr
v_cndmask_b32 v80, -1, v80, s[58:59]               // LDD clip if OOB. offset
/* (d1,vc1,d0,vc0)=(5,0,0,1) */
_v_add_co_u32 v68, vcc, v64, 1                     // coord0.1: coord0 += d0*sg0*VW + vc0
v_cmp_lt_u32 s[54:55], v68, s[sgprSizeI]           // coord0 < size0
v_cmp_lt_u32 s[58:59], v65, s[sgprSizeJ]           // coord1 < size1
s_and_b64 s[58:59], s[54:55], s[58:59]             // in0 && in1
_v_add_lshl_u32 v81, v66, v68, 0x3                 // scaleToBpe: accumulate d0 lower and *= bpe into Cin addr
v_cndmask_b32 v81, -1, v81, s[58:59]               // LDC clip if OOB. offset
_buffer_load_b64 v[86:87], v81, s[sgprSrdC:sgprSrdC+3], 0, offen offset:0,  sc0 sc1 // load C for beta calc
_v_add_lshl_u32 v81, v67, v68, 0x3                 // scaleToBpe: accumulate d0 lower and *= bpe into Cin addr
v_cndmask_b32 v81, -1, v81, s[58:59]               // LDD clip if OOB. offset

/* rC *= alpha batchElements=[(4, 0, 0, 0), (4, 0, 0, 1), (5, 0, 0, 0), (5, 0, 0, 1)] */
v_mul_f64 v[vgprValuC+74:vgprValuC+74+1], s[sgprAlpha:sgprAlpha+1], v[vgprValuC+16:vgprValuC+16+1] // Multiply MI out reg with alpha
v_mul_f64 v[vgprValuC+78:vgprValuC+78+1], s[sgprAlpha:sgprAlpha+1], v[vgprValuC+24:vgprValuC+24+1] // Multiply MI out reg with alpha
	;; [unrolled: 1-line block ×4, first 2 shown]
s_waitcnt vmcnt(0)                                 // wait C

/* apply mask, calc new C and issue writes */
v_fma_f64 v[vgprValuC+74:vgprValuC+74+1], v[72:73], s[sgprBeta:sgprBeta+1], v[vgprValuC+74:vgprValuC+74+1] // finalSum = sum*alpha + C*beta
_buffer_store_b64 v[74:75], v70, s[sgprSrdD:sgprSrdD+3], 0, offen, offset:0,  sc0 sc1 // store D
v_fma_f64 v[vgprValuC+78:vgprValuC+78+1], v[76:77], s[sgprBeta:sgprBeta+1], v[vgprValuC+78:vgprValuC+78+1] // finalSum = sum*alpha + C*beta
_buffer_store_b64 v[78:79], v71, s[sgprSrdD:sgprSrdD+3], 0, offen, offset:0,  sc0 sc1 // store D
	;; [unrolled: 2-line block ×4, first 2 shown]
s_nop 0                                            // 1 wait state required when next inst writes vgprs held by previous dwordx4 store inst
/* optSingleColVgpr=0 optSharedColVgpr=0 optSGPRUsage=BufferLoad_Edge_Mask optSrdIncForRow=0 */

/******************************************/
/* Global Write Alpha Beta Edge Batch #3 (d1,d0,vc1,vc0) = */
/*    (6,0,0,0:vw1); (6,0,0,1:vw1); (7,0,0,0:vw1); (7,0,0,1:vw1) */
/******************************************/

/* calc coords, apply mask, and issue loads (if necessary) */
/* (d1,vc1,d0,vc0)=(6,0,0,0) */
_v_add_co_u32 v65, vcc, v65, 4                     // coord1.1: coord1Vgpr += d1*sg1*VW + vc1

/* Fix for UseInitialStridesCD, emitAddressSetupCode */
s_mul_i32 s54, s[sgprStrideC1J], 4                 // scale stride
_v_add_u32 v66, v66, s54                           // ROWINC- Move cinRowPtr to next row
s_mul_i32 s54, s[sgprStrideD1J], 4                 // scale stride
_v_add_u32 v67, v67, s54                           // Move coutRowPtr to next row
v_cmp_lt_u32 s[54:55], v64, s[sgprSizeI]           // coord0 < size0
v_cmp_lt_u32 s[58:59], v65, s[sgprSizeJ]           // coord1 < size1
s_and_b64 s[58:59], s[54:55], s[58:59]             // in0 && in1
_v_add_lshl_u32 v70, v66, v64, 0x3                 // scaleToBpe: accumulate d0 lower and *= bpe into Cin addr
v_cndmask_b32 v70, -1, v70, s[58:59]               // LDC clip if OOB. offset
_buffer_load_b64 v[72:73], v70, s[sgprSrdC:sgprSrdC+3], 0, offen offset:0,  sc0 sc1 // load C for beta calc
_v_add_lshl_u32 v70, v67, v64, 0x3                 // scaleToBpe: accumulate d0 lower and *= bpe into Cin addr
v_cndmask_b32 v70, -1, v70, s[58:59]               // LDD clip if OOB. offset
/* (d1,vc1,d0,vc0)=(6,0,0,1) */
_v_add_co_u32 v68, vcc, v64, 1                     // coord0.1: coord0 += d0*sg0*VW + vc0
v_cmp_lt_u32 s[54:55], v68, s[sgprSizeI]           // coord0 < size0
v_cmp_lt_u32 s[58:59], v65, s[sgprSizeJ]           // coord1 < size1
s_and_b64 s[58:59], s[54:55], s[58:59]             // in0 && in1
_v_add_lshl_u32 v71, v66, v68, 0x3                 // scaleToBpe: accumulate d0 lower and *= bpe into Cin addr
v_cndmask_b32 v71, -1, v71, s[58:59]               // LDC clip if OOB. offset
_buffer_load_b64 v[76:77], v71, s[sgprSrdC:sgprSrdC+3], 0, offen offset:0,  sc0 sc1 // load C for beta calc
_v_add_lshl_u32 v71, v67, v68, 0x3                 // scaleToBpe: accumulate d0 lower and *= bpe into Cin addr
v_cndmask_b32 v71, -1, v71, s[58:59]               // LDD clip if OOB. offset
/* (d1,vc1,d0,vc0)=(7,0,0,0) */
_v_add_co_u32 v65, vcc, v65, 4                     // coord1.1: coord1Vgpr += d1*sg1*VW + vc1

/* Fix for UseInitialStridesCD, emitAddressSetupCode */
s_mul_i32 s54, s[sgprStrideC1J], 4                 // scale stride
_v_add_u32 v66, v66, s54                           // ROWINC- Move cinRowPtr to next row
s_mul_i32 s54, s[sgprStrideD1J], 4                 // scale stride
_v_add_u32 v67, v67, s54                           // Move coutRowPtr to next row
v_cmp_lt_u32 s[54:55], v64, s[sgprSizeI]           // coord0 < size0
v_cmp_lt_u32 s[58:59], v65, s[sgprSizeJ]           // coord1 < size1
s_and_b64 s[58:59], s[54:55], s[58:59]             // in0 && in1
_v_add_lshl_u32 v80, v66, v64, 0x3                 // scaleToBpe: accumulate d0 lower and *= bpe into Cin addr
v_cndmask_b32 v80, -1, v80, s[58:59]               // LDC clip if OOB. offset
_buffer_load_b64 v[82:83], v80, s[sgprSrdC:sgprSrdC+3], 0, offen offset:0,  sc0 sc1 // load C for beta calc
_v_add_lshl_u32 v80, v67, v64, 0x3                 // scaleToBpe: accumulate d0 lower and *= bpe into Cin addr
v_cndmask_b32 v80, -1, v80, s[58:59]               // LDD clip if OOB. offset
/* (d1,vc1,d0,vc0)=(7,0,0,1) */
_v_add_co_u32 v68, vcc, v64, 1                     // coord0.1: coord0 += d0*sg0*VW + vc0
v_cmp_lt_u32 s[54:55], v68, s[sgprSizeI]           // coord0 < size0
v_cmp_lt_u32 s[58:59], v65, s[sgprSizeJ]           // coord1 < size1
s_and_b64 s[58:59], s[54:55], s[58:59]             // in0 && in1
_v_add_lshl_u32 v81, v66, v68, 0x3                 // scaleToBpe: accumulate d0 lower and *= bpe into Cin addr
v_cndmask_b32 v81, -1, v81, s[58:59]               // LDC clip if OOB. offset
_buffer_load_b64 v[86:87], v81, s[sgprSrdC:sgprSrdC+3], 0, offen offset:0,  sc0 sc1 // load C for beta calc
_v_add_lshl_u32 v81, v67, v68, 0x3                 // scaleToBpe: accumulate d0 lower and *= bpe into Cin addr
v_cndmask_b32 v81, -1, v81, s[58:59]               // LDD clip if OOB. offset

/* rC *= alpha batchElements=[(6, 0, 0, 0), (6, 0, 0, 1), (7, 0, 0, 0), (7, 0, 0, 1)] */
v_mul_f64 v[vgprValuC+74:vgprValuC+74+1], s[sgprAlpha:sgprAlpha+1], v[vgprValuC+20:vgprValuC+20+1] // Multiply MI out reg with alpha
v_mul_f64 v[vgprValuC+78:vgprValuC+78+1], s[sgprAlpha:sgprAlpha+1], v[vgprValuC+28:vgprValuC+28+1] // Multiply MI out reg with alpha
	;; [unrolled: 1-line block ×4, first 2 shown]
s_waitcnt vmcnt(0)                                 // wait C

/* apply mask, calc new C and issue writes */
v_fma_f64 v[vgprValuC+74:vgprValuC+74+1], v[72:73], s[sgprBeta:sgprBeta+1], v[vgprValuC+74:vgprValuC+74+1] // finalSum = sum*alpha + C*beta
_buffer_store_b64 v[74:75], v70, s[sgprSrdD:sgprSrdD+3], 0, offen, offset:0,  sc0 sc1 // store D
v_fma_f64 v[vgprValuC+78:vgprValuC+78+1], v[76:77], s[sgprBeta:sgprBeta+1], v[vgprValuC+78:vgprValuC+78+1] // finalSum = sum*alpha + C*beta
_buffer_store_b64 v[78:79], v71, s[sgprSrdD:sgprSrdD+3], 0, offen, offset:0,  sc0 sc1 // store D
	;; [unrolled: 2-line block ×4, first 2 shown]
s_nop 0                                            // 1 wait state required when next inst writes vgprs held by previous dwordx4 store inst
/* optSingleColVgpr=0 optSharedColVgpr=0 optSGPRUsage=BufferLoad_Edge_Mask optSrdIncForRow=0 */

/******************************************/
/* Global Write Alpha Beta Edge Batch #4 (d1,d0,vc1,vc0) = */
/*    (8,0,0,0:vw1); (8,0,0,1:vw1); (9,0,0,0:vw1); (9,0,0,1:vw1) */
/******************************************/

/* calc coords, apply mask, and issue loads (if necessary) */
/* (d1,vc1,d0,vc0)=(8,0,0,0) */
_v_add_co_u32 v65, vcc, v65, 4                     // coord1.1: coord1Vgpr += d1*sg1*VW + vc1

/* Fix for UseInitialStridesCD, emitAddressSetupCode */
s_mul_i32 s54, s[sgprStrideC1J], 4                 // scale stride
_v_add_u32 v66, v66, s54                           // ROWINC- Move cinRowPtr to next row
s_mul_i32 s54, s[sgprStrideD1J], 4                 // scale stride
_v_add_u32 v67, v67, s54                           // Move coutRowPtr to next row
v_cmp_lt_u32 s[54:55], v64, s[sgprSizeI]           // coord0 < size0
v_cmp_lt_u32 s[58:59], v65, s[sgprSizeJ]           // coord1 < size1
s_and_b64 s[58:59], s[54:55], s[58:59]             // in0 && in1
_v_add_lshl_u32 v70, v66, v64, 0x3                 // scaleToBpe: accumulate d0 lower and *= bpe into Cin addr
v_cndmask_b32 v70, -1, v70, s[58:59]               // LDC clip if OOB. offset
_buffer_load_b64 v[72:73], v70, s[sgprSrdC:sgprSrdC+3], 0, offen offset:0,  sc0 sc1 // load C for beta calc
_v_add_lshl_u32 v70, v67, v64, 0x3                 // scaleToBpe: accumulate d0 lower and *= bpe into Cin addr
v_cndmask_b32 v70, -1, v70, s[58:59]               // LDD clip if OOB. offset
/* (d1,vc1,d0,vc0)=(8,0,0,1) */
_v_add_co_u32 v68, vcc, v64, 1                     // coord0.1: coord0 += d0*sg0*VW + vc0
v_cmp_lt_u32 s[54:55], v68, s[sgprSizeI]           // coord0 < size0
v_cmp_lt_u32 s[58:59], v65, s[sgprSizeJ]           // coord1 < size1
s_and_b64 s[58:59], s[54:55], s[58:59]             // in0 && in1
_v_add_lshl_u32 v71, v66, v68, 0x3                 // scaleToBpe: accumulate d0 lower and *= bpe into Cin addr
v_cndmask_b32 v71, -1, v71, s[58:59]               // LDC clip if OOB. offset
_buffer_load_b64 v[76:77], v71, s[sgprSrdC:sgprSrdC+3], 0, offen offset:0,  sc0 sc1 // load C for beta calc
_v_add_lshl_u32 v71, v67, v68, 0x3                 // scaleToBpe: accumulate d0 lower and *= bpe into Cin addr
v_cndmask_b32 v71, -1, v71, s[58:59]               // LDD clip if OOB. offset
/* (d1,vc1,d0,vc0)=(9,0,0,0) */
_v_add_co_u32 v65, vcc, v65, 4                     // coord1.1: coord1Vgpr += d1*sg1*VW + vc1

/* Fix for UseInitialStridesCD, emitAddressSetupCode */
s_mul_i32 s54, s[sgprStrideC1J], 4                 // scale stride
_v_add_u32 v66, v66, s54                           // ROWINC- Move cinRowPtr to next row
s_mul_i32 s54, s[sgprStrideD1J], 4                 // scale stride
_v_add_u32 v67, v67, s54                           // Move coutRowPtr to next row
v_cmp_lt_u32 s[54:55], v64, s[sgprSizeI]           // coord0 < size0
v_cmp_lt_u32 s[58:59], v65, s[sgprSizeJ]           // coord1 < size1
s_and_b64 s[58:59], s[54:55], s[58:59]             // in0 && in1
_v_add_lshl_u32 v80, v66, v64, 0x3                 // scaleToBpe: accumulate d0 lower and *= bpe into Cin addr
v_cndmask_b32 v80, -1, v80, s[58:59]               // LDC clip if OOB. offset
_buffer_load_b64 v[82:83], v80, s[sgprSrdC:sgprSrdC+3], 0, offen offset:0,  sc0 sc1 // load C for beta calc
_v_add_lshl_u32 v80, v67, v64, 0x3                 // scaleToBpe: accumulate d0 lower and *= bpe into Cin addr
v_cndmask_b32 v80, -1, v80, s[58:59]               // LDD clip if OOB. offset
/* (d1,vc1,d0,vc0)=(9,0,0,1) */
_v_add_co_u32 v68, vcc, v64, 1                     // coord0.1: coord0 += d0*sg0*VW + vc0
v_cmp_lt_u32 s[54:55], v68, s[sgprSizeI]           // coord0 < size0
v_cmp_lt_u32 s[58:59], v65, s[sgprSizeJ]           // coord1 < size1
s_and_b64 s[58:59], s[54:55], s[58:59]             // in0 && in1
_v_add_lshl_u32 v81, v66, v68, 0x3                 // scaleToBpe: accumulate d0 lower and *= bpe into Cin addr
v_cndmask_b32 v81, -1, v81, s[58:59]               // LDC clip if OOB. offset
_buffer_load_b64 v[86:87], v81, s[sgprSrdC:sgprSrdC+3], 0, offen offset:0,  sc0 sc1 // load C for beta calc
_v_add_lshl_u32 v81, v67, v68, 0x3                 // scaleToBpe: accumulate d0 lower and *= bpe into Cin addr
v_cndmask_b32 v81, -1, v81, s[58:59]               // LDD clip if OOB. offset

/* rC *= alpha batchElements=[(8, 0, 0, 0), (8, 0, 0, 1), (9, 0, 0, 0), (9, 0, 0, 1)] */
v_mul_f64 v[vgprValuC+74:vgprValuC+74+1], s[sgprAlpha:sgprAlpha+1], v[vgprValuC+32:vgprValuC+32+1] // Multiply MI out reg with alpha
v_mul_f64 v[vgprValuC+78:vgprValuC+78+1], s[sgprAlpha:sgprAlpha+1], v[vgprValuC+40:vgprValuC+40+1] // Multiply MI out reg with alpha
	;; [unrolled: 1-line block ×4, first 2 shown]
s_waitcnt vmcnt(0)                                 // wait C

/* apply mask, calc new C and issue writes */
v_fma_f64 v[vgprValuC+74:vgprValuC+74+1], v[72:73], s[sgprBeta:sgprBeta+1], v[vgprValuC+74:vgprValuC+74+1] // finalSum = sum*alpha + C*beta
_buffer_store_b64 v[74:75], v70, s[sgprSrdD:sgprSrdD+3], 0, offen, offset:0,  sc0 sc1 // store D
v_fma_f64 v[vgprValuC+78:vgprValuC+78+1], v[76:77], s[sgprBeta:sgprBeta+1], v[vgprValuC+78:vgprValuC+78+1] // finalSum = sum*alpha + C*beta
_buffer_store_b64 v[78:79], v71, s[sgprSrdD:sgprSrdD+3], 0, offen, offset:0,  sc0 sc1 // store D
	;; [unrolled: 2-line block ×4, first 2 shown]
s_nop 0                                            // 1 wait state required when next inst writes vgprs held by previous dwordx4 store inst
/* optSingleColVgpr=0 optSharedColVgpr=0 optSGPRUsage=BufferLoad_Edge_Mask optSrdIncForRow=0 */

/******************************************/
/* Global Write Alpha Beta Edge Batch #5 (d1,d0,vc1,vc0) = */
/*    (10,0,0,0:vw1); (10,0,0,1:vw1); (11,0,0,0:vw1); (11,0,0,1:vw1) */
/******************************************/

/* calc coords, apply mask, and issue loads (if necessary) */
/* (d1,vc1,d0,vc0)=(10,0,0,0) */
_v_add_co_u32 v65, vcc, v65, 4                     // coord1.1: coord1Vgpr += d1*sg1*VW + vc1

/* Fix for UseInitialStridesCD, emitAddressSetupCode */
s_mul_i32 s54, s[sgprStrideC1J], 4                 // scale stride
_v_add_u32 v66, v66, s54                           // ROWINC- Move cinRowPtr to next row
s_mul_i32 s54, s[sgprStrideD1J], 4                 // scale stride
_v_add_u32 v67, v67, s54                           // Move coutRowPtr to next row
v_cmp_lt_u32 s[54:55], v64, s[sgprSizeI]           // coord0 < size0
v_cmp_lt_u32 s[58:59], v65, s[sgprSizeJ]           // coord1 < size1
s_and_b64 s[58:59], s[54:55], s[58:59]             // in0 && in1
_v_add_lshl_u32 v70, v66, v64, 0x3                 // scaleToBpe: accumulate d0 lower and *= bpe into Cin addr
v_cndmask_b32 v70, -1, v70, s[58:59]               // LDC clip if OOB. offset
_buffer_load_b64 v[72:73], v70, s[sgprSrdC:sgprSrdC+3], 0, offen offset:0,  sc0 sc1 // load C for beta calc
_v_add_lshl_u32 v70, v67, v64, 0x3                 // scaleToBpe: accumulate d0 lower and *= bpe into Cin addr
v_cndmask_b32 v70, -1, v70, s[58:59]               // LDD clip if OOB. offset
/* (d1,vc1,d0,vc0)=(10,0,0,1) */
_v_add_co_u32 v68, vcc, v64, 1                     // coord0.1: coord0 += d0*sg0*VW + vc0
v_cmp_lt_u32 s[54:55], v68, s[sgprSizeI]           // coord0 < size0
v_cmp_lt_u32 s[58:59], v65, s[sgprSizeJ]           // coord1 < size1
s_and_b64 s[58:59], s[54:55], s[58:59]             // in0 && in1
_v_add_lshl_u32 v71, v66, v68, 0x3                 // scaleToBpe: accumulate d0 lower and *= bpe into Cin addr
v_cndmask_b32 v71, -1, v71, s[58:59]               // LDC clip if OOB. offset
_buffer_load_b64 v[76:77], v71, s[sgprSrdC:sgprSrdC+3], 0, offen offset:0,  sc0 sc1 // load C for beta calc
_v_add_lshl_u32 v71, v67, v68, 0x3                 // scaleToBpe: accumulate d0 lower and *= bpe into Cin addr
v_cndmask_b32 v71, -1, v71, s[58:59]               // LDD clip if OOB. offset
/* (d1,vc1,d0,vc0)=(11,0,0,0) */
_v_add_co_u32 v65, vcc, v65, 4                     // coord1.1: coord1Vgpr += d1*sg1*VW + vc1

/* Fix for UseInitialStridesCD, emitAddressSetupCode */
s_mul_i32 s54, s[sgprStrideC1J], 4                 // scale stride
_v_add_u32 v66, v66, s54                           // ROWINC- Move cinRowPtr to next row
s_mul_i32 s54, s[sgprStrideD1J], 4                 // scale stride
_v_add_u32 v67, v67, s54                           // Move coutRowPtr to next row
v_cmp_lt_u32 s[54:55], v64, s[sgprSizeI]           // coord0 < size0
v_cmp_lt_u32 s[58:59], v65, s[sgprSizeJ]           // coord1 < size1
s_and_b64 s[58:59], s[54:55], s[58:59]             // in0 && in1
_v_add_lshl_u32 v80, v66, v64, 0x3                 // scaleToBpe: accumulate d0 lower and *= bpe into Cin addr
v_cndmask_b32 v80, -1, v80, s[58:59]               // LDC clip if OOB. offset
_buffer_load_b64 v[82:83], v80, s[sgprSrdC:sgprSrdC+3], 0, offen offset:0,  sc0 sc1 // load C for beta calc
_v_add_lshl_u32 v80, v67, v64, 0x3                 // scaleToBpe: accumulate d0 lower and *= bpe into Cin addr
v_cndmask_b32 v80, -1, v80, s[58:59]               // LDD clip if OOB. offset
/* (d1,vc1,d0,vc0)=(11,0,0,1) */
_v_add_co_u32 v68, vcc, v64, 1                     // coord0.1: coord0 += d0*sg0*VW + vc0
v_cmp_lt_u32 s[54:55], v68, s[sgprSizeI]           // coord0 < size0
v_cmp_lt_u32 s[58:59], v65, s[sgprSizeJ]           // coord1 < size1
s_and_b64 s[58:59], s[54:55], s[58:59]             // in0 && in1
_v_add_lshl_u32 v81, v66, v68, 0x3                 // scaleToBpe: accumulate d0 lower and *= bpe into Cin addr
v_cndmask_b32 v81, -1, v81, s[58:59]               // LDC clip if OOB. offset
_buffer_load_b64 v[86:87], v81, s[sgprSrdC:sgprSrdC+3], 0, offen offset:0,  sc0 sc1 // load C for beta calc
_v_add_lshl_u32 v81, v67, v68, 0x3                 // scaleToBpe: accumulate d0 lower and *= bpe into Cin addr
v_cndmask_b32 v81, -1, v81, s[58:59]               // LDD clip if OOB. offset

/* rC *= alpha batchElements=[(10, 0, 0, 0), (10, 0, 0, 1), (11, 0, 0, 0), (11, 0, 0, 1)] */
v_mul_f64 v[vgprValuC+74:vgprValuC+74+1], s[sgprAlpha:sgprAlpha+1], v[vgprValuC+36:vgprValuC+36+1] // Multiply MI out reg with alpha
v_mul_f64 v[vgprValuC+78:vgprValuC+78+1], s[sgprAlpha:sgprAlpha+1], v[vgprValuC+44:vgprValuC+44+1] // Multiply MI out reg with alpha
	;; [unrolled: 1-line block ×4, first 2 shown]
s_waitcnt vmcnt(0)                                 // wait C

/* apply mask, calc new C and issue writes */
v_fma_f64 v[vgprValuC+74:vgprValuC+74+1], v[72:73], s[sgprBeta:sgprBeta+1], v[vgprValuC+74:vgprValuC+74+1] // finalSum = sum*alpha + C*beta
_buffer_store_b64 v[74:75], v70, s[sgprSrdD:sgprSrdD+3], 0, offen, offset:0,  sc0 sc1 // store D
v_fma_f64 v[vgprValuC+78:vgprValuC+78+1], v[76:77], s[sgprBeta:sgprBeta+1], v[vgprValuC+78:vgprValuC+78+1] // finalSum = sum*alpha + C*beta
_buffer_store_b64 v[78:79], v71, s[sgprSrdD:sgprSrdD+3], 0, offen, offset:0,  sc0 sc1 // store D
	;; [unrolled: 2-line block ×4, first 2 shown]
s_nop 0                                            // 1 wait state required when next inst writes vgprs held by previous dwordx4 store inst
/* optSingleColVgpr=0 optSharedColVgpr=0 optSGPRUsage=BufferLoad_Edge_Mask optSrdIncForRow=0 */

/******************************************/
/* Global Write Alpha Beta Edge Batch #6 (d1,d0,vc1,vc0) = */
/*    (12,0,0,0:vw1); (12,0,0,1:vw1); (13,0,0,0:vw1); (13,0,0,1:vw1) */
/******************************************/

/* calc coords, apply mask, and issue loads (if necessary) */
/* (d1,vc1,d0,vc0)=(12,0,0,0) */
_v_add_co_u32 v65, vcc, v65, 4                     // coord1.1: coord1Vgpr += d1*sg1*VW + vc1

/* Fix for UseInitialStridesCD, emitAddressSetupCode */
s_mul_i32 s54, s[sgprStrideC1J], 4                 // scale stride
_v_add_u32 v66, v66, s54                           // ROWINC- Move cinRowPtr to next row
s_mul_i32 s54, s[sgprStrideD1J], 4                 // scale stride
_v_add_u32 v67, v67, s54                           // Move coutRowPtr to next row
v_cmp_lt_u32 s[54:55], v64, s[sgprSizeI]           // coord0 < size0
v_cmp_lt_u32 s[58:59], v65, s[sgprSizeJ]           // coord1 < size1
s_and_b64 s[58:59], s[54:55], s[58:59]             // in0 && in1
_v_add_lshl_u32 v70, v66, v64, 0x3                 // scaleToBpe: accumulate d0 lower and *= bpe into Cin addr
v_cndmask_b32 v70, -1, v70, s[58:59]               // LDC clip if OOB. offset
_buffer_load_b64 v[72:73], v70, s[sgprSrdC:sgprSrdC+3], 0, offen offset:0,  sc0 sc1 // load C for beta calc
_v_add_lshl_u32 v70, v67, v64, 0x3                 // scaleToBpe: accumulate d0 lower and *= bpe into Cin addr
v_cndmask_b32 v70, -1, v70, s[58:59]               // LDD clip if OOB. offset
/* (d1,vc1,d0,vc0)=(12,0,0,1) */
_v_add_co_u32 v68, vcc, v64, 1                     // coord0.1: coord0 += d0*sg0*VW + vc0
v_cmp_lt_u32 s[54:55], v68, s[sgprSizeI]           // coord0 < size0
v_cmp_lt_u32 s[58:59], v65, s[sgprSizeJ]           // coord1 < size1
s_and_b64 s[58:59], s[54:55], s[58:59]             // in0 && in1
_v_add_lshl_u32 v71, v66, v68, 0x3                 // scaleToBpe: accumulate d0 lower and *= bpe into Cin addr
v_cndmask_b32 v71, -1, v71, s[58:59]               // LDC clip if OOB. offset
_buffer_load_b64 v[76:77], v71, s[sgprSrdC:sgprSrdC+3], 0, offen offset:0,  sc0 sc1 // load C for beta calc
_v_add_lshl_u32 v71, v67, v68, 0x3                 // scaleToBpe: accumulate d0 lower and *= bpe into Cin addr
v_cndmask_b32 v71, -1, v71, s[58:59]               // LDD clip if OOB. offset
/* (d1,vc1,d0,vc0)=(13,0,0,0) */
_v_add_co_u32 v65, vcc, v65, 4                     // coord1.1: coord1Vgpr += d1*sg1*VW + vc1

/* Fix for UseInitialStridesCD, emitAddressSetupCode */
s_mul_i32 s54, s[sgprStrideC1J], 4                 // scale stride
_v_add_u32 v66, v66, s54                           // ROWINC- Move cinRowPtr to next row
s_mul_i32 s54, s[sgprStrideD1J], 4                 // scale stride
_v_add_u32 v67, v67, s54                           // Move coutRowPtr to next row
v_cmp_lt_u32 s[54:55], v64, s[sgprSizeI]           // coord0 < size0
v_cmp_lt_u32 s[58:59], v65, s[sgprSizeJ]           // coord1 < size1
s_and_b64 s[58:59], s[54:55], s[58:59]             // in0 && in1
_v_add_lshl_u32 v80, v66, v64, 0x3                 // scaleToBpe: accumulate d0 lower and *= bpe into Cin addr
v_cndmask_b32 v80, -1, v80, s[58:59]               // LDC clip if OOB. offset
_buffer_load_b64 v[82:83], v80, s[sgprSrdC:sgprSrdC+3], 0, offen offset:0,  sc0 sc1 // load C for beta calc
_v_add_lshl_u32 v80, v67, v64, 0x3                 // scaleToBpe: accumulate d0 lower and *= bpe into Cin addr
v_cndmask_b32 v80, -1, v80, s[58:59]               // LDD clip if OOB. offset
/* (d1,vc1,d0,vc0)=(13,0,0,1) */
_v_add_co_u32 v68, vcc, v64, 1                     // coord0.1: coord0 += d0*sg0*VW + vc0
v_cmp_lt_u32 s[54:55], v68, s[sgprSizeI]           // coord0 < size0
v_cmp_lt_u32 s[58:59], v65, s[sgprSizeJ]           // coord1 < size1
s_and_b64 s[58:59], s[54:55], s[58:59]             // in0 && in1
_v_add_lshl_u32 v81, v66, v68, 0x3                 // scaleToBpe: accumulate d0 lower and *= bpe into Cin addr
v_cndmask_b32 v81, -1, v81, s[58:59]               // LDC clip if OOB. offset
_buffer_load_b64 v[86:87], v81, s[sgprSrdC:sgprSrdC+3], 0, offen offset:0,  sc0 sc1 // load C for beta calc
_v_add_lshl_u32 v81, v67, v68, 0x3                 // scaleToBpe: accumulate d0 lower and *= bpe into Cin addr
v_cndmask_b32 v81, -1, v81, s[58:59]               // LDD clip if OOB. offset

/* rC *= alpha batchElements=[(12, 0, 0, 0), (12, 0, 0, 1), (13, 0, 0, 0), (13, 0, 0, 1)] */
v_mul_f64 v[vgprValuC+74:vgprValuC+74+1], s[sgprAlpha:sgprAlpha+1], v[vgprValuC+48:vgprValuC+48+1] // Multiply MI out reg with alpha
v_mul_f64 v[vgprValuC+78:vgprValuC+78+1], s[sgprAlpha:sgprAlpha+1], v[vgprValuC+56:vgprValuC+56+1] // Multiply MI out reg with alpha
	;; [unrolled: 1-line block ×4, first 2 shown]
s_waitcnt vmcnt(0)                                 // wait C

/* apply mask, calc new C and issue writes */
v_fma_f64 v[vgprValuC+74:vgprValuC+74+1], v[72:73], s[sgprBeta:sgprBeta+1], v[vgprValuC+74:vgprValuC+74+1] // finalSum = sum*alpha + C*beta
_buffer_store_b64 v[74:75], v70, s[sgprSrdD:sgprSrdD+3], 0, offen, offset:0,  sc0 sc1 // store D
v_fma_f64 v[vgprValuC+78:vgprValuC+78+1], v[76:77], s[sgprBeta:sgprBeta+1], v[vgprValuC+78:vgprValuC+78+1] // finalSum = sum*alpha + C*beta
_buffer_store_b64 v[78:79], v71, s[sgprSrdD:sgprSrdD+3], 0, offen, offset:0,  sc0 sc1 // store D
	;; [unrolled: 2-line block ×4, first 2 shown]
s_nop 0                                            // 1 wait state required when next inst writes vgprs held by previous dwordx4 store inst
/* optSingleColVgpr=0 optSharedColVgpr=0 optSGPRUsage=BufferLoad_Edge_Mask optSrdIncForRow=0 */

/******************************************/
/* Global Write Alpha Beta Edge Batch #7 (d1,d0,vc1,vc0) = */
/*    (14,0,0,0:vw1); (14,0,0,1:vw1); (15,0,0,0:vw1); (15,0,0,1:vw1) */
/******************************************/

/* calc coords, apply mask, and issue loads (if necessary) */
/* (d1,vc1,d0,vc0)=(14,0,0,0) */
_v_add_co_u32 v65, vcc, v65, 4                     // coord1.1: coord1Vgpr += d1*sg1*VW + vc1

/* Fix for UseInitialStridesCD, emitAddressSetupCode */
s_mul_i32 s54, s[sgprStrideC1J], 4                 // scale stride
_v_add_u32 v66, v66, s54                           // ROWINC- Move cinRowPtr to next row
s_mul_i32 s54, s[sgprStrideD1J], 4                 // scale stride
_v_add_u32 v67, v67, s54                           // Move coutRowPtr to next row
v_cmp_lt_u32 s[54:55], v64, s[sgprSizeI]           // coord0 < size0
v_cmp_lt_u32 s[58:59], v65, s[sgprSizeJ]           // coord1 < size1
s_and_b64 s[58:59], s[54:55], s[58:59]             // in0 && in1
_v_add_lshl_u32 v70, v66, v64, 0x3                 // scaleToBpe: accumulate d0 lower and *= bpe into Cin addr
v_cndmask_b32 v70, -1, v70, s[58:59]               // LDC clip if OOB. offset
_buffer_load_b64 v[72:73], v70, s[sgprSrdC:sgprSrdC+3], 0, offen offset:0,  sc0 sc1 // load C for beta calc
_v_add_lshl_u32 v70, v67, v64, 0x3                 // scaleToBpe: accumulate d0 lower and *= bpe into Cin addr
v_cndmask_b32 v70, -1, v70, s[58:59]               // LDD clip if OOB. offset
/* (d1,vc1,d0,vc0)=(14,0,0,1) */
_v_add_co_u32 v68, vcc, v64, 1                     // coord0.1: coord0 += d0*sg0*VW + vc0
v_cmp_lt_u32 s[54:55], v68, s[sgprSizeI]           // coord0 < size0
v_cmp_lt_u32 s[58:59], v65, s[sgprSizeJ]           // coord1 < size1
s_and_b64 s[58:59], s[54:55], s[58:59]             // in0 && in1
_v_add_lshl_u32 v71, v66, v68, 0x3                 // scaleToBpe: accumulate d0 lower and *= bpe into Cin addr
v_cndmask_b32 v71, -1, v71, s[58:59]               // LDC clip if OOB. offset
_buffer_load_b64 v[76:77], v71, s[sgprSrdC:sgprSrdC+3], 0, offen offset:0,  sc0 sc1 // load C for beta calc
_v_add_lshl_u32 v71, v67, v68, 0x3                 // scaleToBpe: accumulate d0 lower and *= bpe into Cin addr
v_cndmask_b32 v71, -1, v71, s[58:59]               // LDD clip if OOB. offset
/* (d1,vc1,d0,vc0)=(15,0,0,0) */
_v_add_co_u32 v65, vcc, v65, 4                     // coord1.1: coord1Vgpr += d1*sg1*VW + vc1

/* Fix for UseInitialStridesCD, emitAddressSetupCode */
s_mul_i32 s54, s[sgprStrideC1J], 4                 // scale stride
_v_add_u32 v66, v66, s54                           // ROWINC- Move cinRowPtr to next row
s_mul_i32 s54, s[sgprStrideD1J], 4                 // scale stride
_v_add_u32 v67, v67, s54                           // Move coutRowPtr to next row
v_cmp_lt_u32 s[54:55], v64, s[sgprSizeI]           // coord0 < size0
v_cmp_lt_u32 s[58:59], v65, s[sgprSizeJ]           // coord1 < size1
s_and_b64 s[58:59], s[54:55], s[58:59]             // in0 && in1
_v_add_lshl_u32 v80, v66, v64, 0x3                 // scaleToBpe: accumulate d0 lower and *= bpe into Cin addr
v_cndmask_b32 v80, -1, v80, s[58:59]               // LDC clip if OOB. offset
_buffer_load_b64 v[82:83], v80, s[sgprSrdC:sgprSrdC+3], 0, offen offset:0,  sc0 sc1 // load C for beta calc
_v_add_lshl_u32 v80, v67, v64, 0x3                 // scaleToBpe: accumulate d0 lower and *= bpe into Cin addr
v_cndmask_b32 v80, -1, v80, s[58:59]               // LDD clip if OOB. offset
/* (d1,vc1,d0,vc0)=(15,0,0,1) */
_v_add_co_u32 v68, vcc, v64, 1                     // coord0.1: coord0 += d0*sg0*VW + vc0
v_cmp_lt_u32 s[54:55], v68, s[sgprSizeI]           // coord0 < size0
v_cmp_lt_u32 s[58:59], v65, s[sgprSizeJ]           // coord1 < size1
s_and_b64 s[58:59], s[54:55], s[58:59]             // in0 && in1
_v_add_lshl_u32 v81, v66, v68, 0x3                 // scaleToBpe: accumulate d0 lower and *= bpe into Cin addr
v_cndmask_b32 v81, -1, v81, s[58:59]               // LDC clip if OOB. offset
_buffer_load_b64 v[86:87], v81, s[sgprSrdC:sgprSrdC+3], 0, offen offset:0,  sc0 sc1 // load C for beta calc
_v_add_lshl_u32 v81, v67, v68, 0x3                 // scaleToBpe: accumulate d0 lower and *= bpe into Cin addr
v_cndmask_b32 v81, -1, v81, s[58:59]               // LDD clip if OOB. offset

/* rC *= alpha batchElements=[(14, 0, 0, 0), (14, 0, 0, 1), (15, 0, 0, 0), (15, 0, 0, 1)] */
v_mul_f64 v[vgprValuC+74:vgprValuC+74+1], s[sgprAlpha:sgprAlpha+1], v[vgprValuC+52:vgprValuC+52+1] // Multiply MI out reg with alpha
v_mul_f64 v[vgprValuC+78:vgprValuC+78+1], s[sgprAlpha:sgprAlpha+1], v[vgprValuC+60:vgprValuC+60+1] // Multiply MI out reg with alpha
	;; [unrolled: 1-line block ×4, first 2 shown]
s_waitcnt vmcnt(0)                                 // wait C

/* apply mask, calc new C and issue writes */
v_fma_f64 v[vgprValuC+74:vgprValuC+74+1], v[72:73], s[sgprBeta:sgprBeta+1], v[vgprValuC+74:vgprValuC+74+1] // finalSum = sum*alpha + C*beta
_buffer_store_b64 v[74:75], v70, s[sgprSrdD:sgprSrdD+3], 0, offen, offset:0,  sc0 sc1 // store D
v_fma_f64 v[vgprValuC+78:vgprValuC+78+1], v[76:77], s[sgprBeta:sgprBeta+1], v[vgprValuC+78:vgprValuC+78+1] // finalSum = sum*alpha + C*beta
_buffer_store_b64 v[78:79], v71, s[sgprSrdD:sgprSrdD+3], 0, offen, offset:0,  sc0 sc1 // store D
	;; [unrolled: 2-line block ×4, first 2 shown]
s_nop 0                                            // 1 wait state required when next inst writes vgprs held by previous dwordx4 store inst
s_branch label_GW_End_50                           // jump to end
label_GW_End_50:

label_0055:  /// KernelEnd
s_endpgm                                           // Kernel End

